;; amdgpu-corpus repo=ROCm/rocFFT kind=compiled arch=gfx1201 opt=O3
	.text
	.amdgcn_target "amdgcn-amd-amdhsa--gfx1201"
	.amdhsa_code_object_version 6
	.protected	fft_rtc_fwd_len1176_factors_2_2_2_3_7_7_wgs_56_tpt_56_halfLds_dp_ip_CI_unitstride_sbrr_R2C_dirReg ; -- Begin function fft_rtc_fwd_len1176_factors_2_2_2_3_7_7_wgs_56_tpt_56_halfLds_dp_ip_CI_unitstride_sbrr_R2C_dirReg
	.globl	fft_rtc_fwd_len1176_factors_2_2_2_3_7_7_wgs_56_tpt_56_halfLds_dp_ip_CI_unitstride_sbrr_R2C_dirReg
	.p2align	8
	.type	fft_rtc_fwd_len1176_factors_2_2_2_3_7_7_wgs_56_tpt_56_halfLds_dp_ip_CI_unitstride_sbrr_R2C_dirReg,@function
fft_rtc_fwd_len1176_factors_2_2_2_3_7_7_wgs_56_tpt_56_halfLds_dp_ip_CI_unitstride_sbrr_R2C_dirReg: ; @fft_rtc_fwd_len1176_factors_2_2_2_3_7_7_wgs_56_tpt_56_halfLds_dp_ip_CI_unitstride_sbrr_R2C_dirReg
; %bb.0:
	s_clause 0x2
	s_load_b128 s[4:7], s[0:1], 0x0
	s_load_b64 s[8:9], s[0:1], 0x50
	s_load_b64 s[10:11], s[0:1], 0x18
	v_mul_u32_u24_e32 v1, 0x493, v0
	v_mov_b32_e32 v3, 0
	s_delay_alu instid0(VALU_DEP_2) | instskip(NEXT) | instid1(VALU_DEP_1)
	v_lshrrev_b32_e32 v1, 16, v1
	v_add_nc_u32_e32 v5, ttmp9, v1
	v_mov_b32_e32 v1, 0
	v_mov_b32_e32 v2, 0
	;; [unrolled: 1-line block ×3, first 2 shown]
	s_wait_kmcnt 0x0
	v_cmp_lt_u64_e64 s2, s[6:7], 2
	s_delay_alu instid0(VALU_DEP_1)
	s_and_b32 vcc_lo, exec_lo, s2
	s_cbranch_vccnz .LBB0_8
; %bb.1:
	s_load_b64 s[2:3], s[0:1], 0x10
	v_mov_b32_e32 v1, 0
	v_mov_b32_e32 v2, 0
	s_add_nc_u64 s[12:13], s[10:11], 8
	s_mov_b64 s[14:15], 1
	s_wait_kmcnt 0x0
	s_add_nc_u64 s[16:17], s[2:3], 8
	s_mov_b32 s3, 0
.LBB0_2:                                ; =>This Inner Loop Header: Depth=1
	s_load_b64 s[18:19], s[16:17], 0x0
                                        ; implicit-def: $vgpr7_vgpr8
	s_mov_b32 s2, exec_lo
	s_wait_kmcnt 0x0
	v_or_b32_e32 v4, s19, v6
	s_delay_alu instid0(VALU_DEP_1)
	v_cmpx_ne_u64_e32 0, v[3:4]
	s_wait_alu 0xfffe
	s_xor_b32 s20, exec_lo, s2
	s_cbranch_execz .LBB0_4
; %bb.3:                                ;   in Loop: Header=BB0_2 Depth=1
	s_cvt_f32_u32 s2, s18
	s_cvt_f32_u32 s21, s19
	s_sub_nc_u64 s[24:25], 0, s[18:19]
	s_wait_alu 0xfffe
	s_delay_alu instid0(SALU_CYCLE_1) | instskip(SKIP_1) | instid1(SALU_CYCLE_2)
	s_fmamk_f32 s2, s21, 0x4f800000, s2
	s_wait_alu 0xfffe
	v_s_rcp_f32 s2, s2
	s_delay_alu instid0(TRANS32_DEP_1) | instskip(SKIP_1) | instid1(SALU_CYCLE_2)
	s_mul_f32 s2, s2, 0x5f7ffffc
	s_wait_alu 0xfffe
	s_mul_f32 s21, s2, 0x2f800000
	s_wait_alu 0xfffe
	s_delay_alu instid0(SALU_CYCLE_2) | instskip(SKIP_1) | instid1(SALU_CYCLE_2)
	s_trunc_f32 s21, s21
	s_wait_alu 0xfffe
	s_fmamk_f32 s2, s21, 0xcf800000, s2
	s_cvt_u32_f32 s23, s21
	s_wait_alu 0xfffe
	s_delay_alu instid0(SALU_CYCLE_1) | instskip(SKIP_1) | instid1(SALU_CYCLE_2)
	s_cvt_u32_f32 s22, s2
	s_wait_alu 0xfffe
	s_mul_u64 s[26:27], s[24:25], s[22:23]
	s_wait_alu 0xfffe
	s_mul_hi_u32 s29, s22, s27
	s_mul_i32 s28, s22, s27
	s_mul_hi_u32 s2, s22, s26
	s_mul_i32 s30, s23, s26
	s_wait_alu 0xfffe
	s_add_nc_u64 s[28:29], s[2:3], s[28:29]
	s_mul_hi_u32 s21, s23, s26
	s_mul_hi_u32 s31, s23, s27
	s_add_co_u32 s2, s28, s30
	s_wait_alu 0xfffe
	s_add_co_ci_u32 s2, s29, s21
	s_mul_i32 s26, s23, s27
	s_add_co_ci_u32 s27, s31, 0
	s_wait_alu 0xfffe
	s_add_nc_u64 s[26:27], s[2:3], s[26:27]
	s_wait_alu 0xfffe
	v_add_co_u32 v4, s2, s22, s26
	s_delay_alu instid0(VALU_DEP_1) | instskip(SKIP_1) | instid1(VALU_DEP_1)
	s_cmp_lg_u32 s2, 0
	s_add_co_ci_u32 s23, s23, s27
	v_readfirstlane_b32 s22, v4
	s_wait_alu 0xfffe
	s_delay_alu instid0(VALU_DEP_1)
	s_mul_u64 s[24:25], s[24:25], s[22:23]
	s_wait_alu 0xfffe
	s_mul_hi_u32 s27, s22, s25
	s_mul_i32 s26, s22, s25
	s_mul_hi_u32 s2, s22, s24
	s_mul_i32 s28, s23, s24
	s_wait_alu 0xfffe
	s_add_nc_u64 s[26:27], s[2:3], s[26:27]
	s_mul_hi_u32 s21, s23, s24
	s_mul_hi_u32 s22, s23, s25
	s_wait_alu 0xfffe
	s_add_co_u32 s2, s26, s28
	s_add_co_ci_u32 s2, s27, s21
	s_mul_i32 s24, s23, s25
	s_add_co_ci_u32 s25, s22, 0
	s_wait_alu 0xfffe
	s_add_nc_u64 s[24:25], s[2:3], s[24:25]
	s_wait_alu 0xfffe
	v_add_co_u32 v4, s2, v4, s24
	s_delay_alu instid0(VALU_DEP_1) | instskip(SKIP_1) | instid1(VALU_DEP_1)
	s_cmp_lg_u32 s2, 0
	s_add_co_ci_u32 s2, s23, s25
	v_mul_hi_u32 v13, v5, v4
	s_wait_alu 0xfffe
	v_mad_co_u64_u32 v[7:8], null, v5, s2, 0
	v_mad_co_u64_u32 v[9:10], null, v6, v4, 0
	;; [unrolled: 1-line block ×3, first 2 shown]
	s_delay_alu instid0(VALU_DEP_3) | instskip(SKIP_1) | instid1(VALU_DEP_4)
	v_add_co_u32 v4, vcc_lo, v13, v7
	s_wait_alu 0xfffd
	v_add_co_ci_u32_e32 v7, vcc_lo, 0, v8, vcc_lo
	s_delay_alu instid0(VALU_DEP_2) | instskip(SKIP_1) | instid1(VALU_DEP_2)
	v_add_co_u32 v4, vcc_lo, v4, v9
	s_wait_alu 0xfffd
	v_add_co_ci_u32_e32 v4, vcc_lo, v7, v10, vcc_lo
	s_wait_alu 0xfffd
	v_add_co_ci_u32_e32 v7, vcc_lo, 0, v12, vcc_lo
	s_delay_alu instid0(VALU_DEP_2) | instskip(SKIP_1) | instid1(VALU_DEP_2)
	v_add_co_u32 v4, vcc_lo, v4, v11
	s_wait_alu 0xfffd
	v_add_co_ci_u32_e32 v9, vcc_lo, 0, v7, vcc_lo
	s_delay_alu instid0(VALU_DEP_2) | instskip(SKIP_1) | instid1(VALU_DEP_3)
	v_mul_lo_u32 v10, s19, v4
	v_mad_co_u64_u32 v[7:8], null, s18, v4, 0
	v_mul_lo_u32 v11, s18, v9
	s_delay_alu instid0(VALU_DEP_2) | instskip(NEXT) | instid1(VALU_DEP_2)
	v_sub_co_u32 v7, vcc_lo, v5, v7
	v_add3_u32 v8, v8, v11, v10
	s_delay_alu instid0(VALU_DEP_1) | instskip(SKIP_1) | instid1(VALU_DEP_1)
	v_sub_nc_u32_e32 v10, v6, v8
	s_wait_alu 0xfffd
	v_subrev_co_ci_u32_e64 v10, s2, s19, v10, vcc_lo
	v_add_co_u32 v11, s2, v4, 2
	s_wait_alu 0xf1ff
	v_add_co_ci_u32_e64 v12, s2, 0, v9, s2
	v_sub_co_u32 v13, s2, v7, s18
	v_sub_co_ci_u32_e32 v8, vcc_lo, v6, v8, vcc_lo
	s_wait_alu 0xf1ff
	v_subrev_co_ci_u32_e64 v10, s2, 0, v10, s2
	s_delay_alu instid0(VALU_DEP_3) | instskip(NEXT) | instid1(VALU_DEP_3)
	v_cmp_le_u32_e32 vcc_lo, s18, v13
	v_cmp_eq_u32_e64 s2, s19, v8
	s_wait_alu 0xfffd
	v_cndmask_b32_e64 v13, 0, -1, vcc_lo
	v_cmp_le_u32_e32 vcc_lo, s19, v10
	s_wait_alu 0xfffd
	v_cndmask_b32_e64 v14, 0, -1, vcc_lo
	v_cmp_le_u32_e32 vcc_lo, s18, v7
	;; [unrolled: 3-line block ×3, first 2 shown]
	s_wait_alu 0xfffd
	v_cndmask_b32_e64 v15, 0, -1, vcc_lo
	v_cmp_eq_u32_e32 vcc_lo, s19, v10
	s_wait_alu 0xf1ff
	s_delay_alu instid0(VALU_DEP_2)
	v_cndmask_b32_e64 v7, v15, v7, s2
	s_wait_alu 0xfffd
	v_cndmask_b32_e32 v10, v14, v13, vcc_lo
	v_add_co_u32 v13, vcc_lo, v4, 1
	s_wait_alu 0xfffd
	v_add_co_ci_u32_e32 v14, vcc_lo, 0, v9, vcc_lo
	s_delay_alu instid0(VALU_DEP_3) | instskip(SKIP_2) | instid1(VALU_DEP_3)
	v_cmp_ne_u32_e32 vcc_lo, 0, v10
	s_wait_alu 0xfffd
	v_cndmask_b32_e32 v10, v13, v11, vcc_lo
	v_cndmask_b32_e32 v8, v14, v12, vcc_lo
	v_cmp_ne_u32_e32 vcc_lo, 0, v7
	s_wait_alu 0xfffd
	s_delay_alu instid0(VALU_DEP_2)
	v_dual_cndmask_b32 v7, v4, v10 :: v_dual_cndmask_b32 v8, v9, v8
.LBB0_4:                                ;   in Loop: Header=BB0_2 Depth=1
	s_wait_alu 0xfffe
	s_and_not1_saveexec_b32 s2, s20
	s_cbranch_execz .LBB0_6
; %bb.5:                                ;   in Loop: Header=BB0_2 Depth=1
	v_cvt_f32_u32_e32 v4, s18
	s_sub_co_i32 s20, 0, s18
	s_delay_alu instid0(VALU_DEP_1) | instskip(NEXT) | instid1(TRANS32_DEP_1)
	v_rcp_iflag_f32_e32 v4, v4
	v_mul_f32_e32 v4, 0x4f7ffffe, v4
	s_delay_alu instid0(VALU_DEP_1) | instskip(SKIP_1) | instid1(VALU_DEP_1)
	v_cvt_u32_f32_e32 v4, v4
	s_wait_alu 0xfffe
	v_mul_lo_u32 v7, s20, v4
	s_delay_alu instid0(VALU_DEP_1) | instskip(NEXT) | instid1(VALU_DEP_1)
	v_mul_hi_u32 v7, v4, v7
	v_add_nc_u32_e32 v4, v4, v7
	s_delay_alu instid0(VALU_DEP_1) | instskip(NEXT) | instid1(VALU_DEP_1)
	v_mul_hi_u32 v4, v5, v4
	v_mul_lo_u32 v7, v4, s18
	v_add_nc_u32_e32 v8, 1, v4
	s_delay_alu instid0(VALU_DEP_2) | instskip(NEXT) | instid1(VALU_DEP_1)
	v_sub_nc_u32_e32 v7, v5, v7
	v_subrev_nc_u32_e32 v9, s18, v7
	v_cmp_le_u32_e32 vcc_lo, s18, v7
	s_wait_alu 0xfffd
	s_delay_alu instid0(VALU_DEP_2) | instskip(NEXT) | instid1(VALU_DEP_1)
	v_dual_cndmask_b32 v7, v7, v9 :: v_dual_cndmask_b32 v4, v4, v8
	v_cmp_le_u32_e32 vcc_lo, s18, v7
	s_delay_alu instid0(VALU_DEP_2) | instskip(SKIP_1) | instid1(VALU_DEP_1)
	v_add_nc_u32_e32 v8, 1, v4
	s_wait_alu 0xfffd
	v_dual_cndmask_b32 v7, v4, v8 :: v_dual_mov_b32 v8, v3
.LBB0_6:                                ;   in Loop: Header=BB0_2 Depth=1
	s_wait_alu 0xfffe
	s_or_b32 exec_lo, exec_lo, s2
	s_load_b64 s[20:21], s[12:13], 0x0
	s_delay_alu instid0(VALU_DEP_1)
	v_mul_lo_u32 v4, v8, s18
	v_mul_lo_u32 v11, v7, s19
	v_mad_co_u64_u32 v[9:10], null, v7, s18, 0
	s_add_nc_u64 s[14:15], s[14:15], 1
	s_add_nc_u64 s[12:13], s[12:13], 8
	s_wait_alu 0xfffe
	v_cmp_ge_u64_e64 s2, s[14:15], s[6:7]
	s_add_nc_u64 s[16:17], s[16:17], 8
	s_delay_alu instid0(VALU_DEP_2) | instskip(NEXT) | instid1(VALU_DEP_3)
	v_add3_u32 v4, v10, v11, v4
	v_sub_co_u32 v5, vcc_lo, v5, v9
	s_wait_alu 0xfffd
	s_delay_alu instid0(VALU_DEP_2) | instskip(SKIP_3) | instid1(VALU_DEP_2)
	v_sub_co_ci_u32_e32 v4, vcc_lo, v6, v4, vcc_lo
	s_and_b32 vcc_lo, exec_lo, s2
	s_wait_kmcnt 0x0
	v_mul_lo_u32 v6, s21, v5
	v_mul_lo_u32 v4, s20, v4
	v_mad_co_u64_u32 v[1:2], null, s20, v5, v[1:2]
	s_delay_alu instid0(VALU_DEP_1)
	v_add3_u32 v2, v6, v2, v4
	s_wait_alu 0xfffe
	s_cbranch_vccnz .LBB0_9
; %bb.7:                                ;   in Loop: Header=BB0_2 Depth=1
	v_dual_mov_b32 v5, v7 :: v_dual_mov_b32 v6, v8
	s_branch .LBB0_2
.LBB0_8:
	v_dual_mov_b32 v8, v6 :: v_dual_mov_b32 v7, v5
.LBB0_9:
	s_lshl_b64 s[2:3], s[6:7], 3
	v_mul_hi_u32 v3, 0x4924925, v0
	s_wait_alu 0xfffe
	s_add_nc_u64 s[2:3], s[10:11], s[2:3]
	s_load_b64 s[0:1], s[0:1], 0x20
	s_load_b64 s[2:3], s[2:3], 0x0
	s_delay_alu instid0(VALU_DEP_1) | instskip(NEXT) | instid1(VALU_DEP_1)
	v_mul_u32_u24_e32 v3, 56, v3
	v_sub_nc_u32_e32 v92, v0, v3
	s_delay_alu instid0(VALU_DEP_1)
	v_add_nc_u32_e32 v97, 56, v92
	v_add_nc_u32_e32 v106, 0x70, v92
	;; [unrolled: 1-line block ×4, first 2 shown]
	s_wait_kmcnt 0x0
	v_cmp_gt_u64_e32 vcc_lo, s[0:1], v[7:8]
	v_mul_lo_u32 v3, s2, v8
	v_mul_lo_u32 v4, s3, v7
	v_mad_co_u64_u32 v[0:1], null, s2, v7, v[1:2]
	v_cmp_le_u64_e64 s0, s[0:1], v[7:8]
	v_add_nc_u32_e32 v103, 0x118, v92
	v_add_nc_u32_e32 v102, 0x150, v92
	;; [unrolled: 1-line block ×3, first 2 shown]
	v_or_b32_e32 v100, 0x1c0, v92
	v_add_nc_u32_e32 v99, 0x1f8, v92
	v_add3_u32 v1, v4, v1, v3
	v_add_nc_u32_e32 v96, 0x230, v92
	s_and_saveexec_b32 s1, s0
	s_wait_alu 0xfffe
	s_xor_b32 s0, exec_lo, s1
; %bb.10:
	v_add_nc_u32_e32 v97, 56, v92
	v_add_nc_u32_e32 v106, 0x70, v92
	;; [unrolled: 1-line block ×7, first 2 shown]
	v_or_b32_e32 v100, 0x1c0, v92
	v_add_nc_u32_e32 v99, 0x1f8, v92
	v_add_nc_u32_e32 v96, 0x230, v92
; %bb.11:
	s_wait_alu 0xfffe
	s_or_saveexec_b32 s1, s0
	v_lshlrev_b64_e32 v[94:95], 4, v[0:1]
	s_wait_alu 0xfffe
	s_xor_b32 exec_lo, exec_lo, s1
	s_cbranch_execz .LBB0_13
; %bb.12:
	v_mov_b32_e32 v93, 0
	s_delay_alu instid0(VALU_DEP_2) | instskip(SKIP_2) | instid1(VALU_DEP_3)
	v_add_co_u32 v2, s0, s8, v94
	s_wait_alu 0xf1ff
	v_add_co_ci_u32_e64 v3, s0, s9, v95, s0
	v_lshlrev_b64_e32 v[0:1], 4, v[92:93]
	v_lshl_add_u32 v84, v92, 4, 0
	s_delay_alu instid0(VALU_DEP_2) | instskip(SKIP_1) | instid1(VALU_DEP_3)
	v_add_co_u32 v80, s0, v2, v0
	s_wait_alu 0xf1ff
	v_add_co_ci_u32_e64 v81, s0, v3, v1, s0
	s_clause 0x14
	global_load_b128 v[0:3], v[80:81], off
	global_load_b128 v[4:7], v[80:81], off offset:896
	global_load_b128 v[8:11], v[80:81], off offset:1792
	;; [unrolled: 1-line block ×20, first 2 shown]
	s_wait_loadcnt 0x14
	ds_store_b128 v84, v[0:3]
	s_wait_loadcnt 0x13
	ds_store_b128 v84, v[4:7] offset:896
	s_wait_loadcnt 0x12
	ds_store_b128 v84, v[8:11] offset:1792
	;; [unrolled: 2-line block ×20, first 2 shown]
.LBB0_13:
	s_or_b32 exec_lo, exec_lo, s1
	v_lshlrev_b32_e32 v93, 4, v92
	global_wb scope:SCOPE_SE
	s_wait_dscnt 0x0
	s_barrier_signal -1
	s_barrier_wait -1
	global_inv scope:SCOPE_SE
	v_add_nc_u32_e32 v108, 0, v93
	v_lshl_add_u32 v88, v103, 5, 0
	v_lshl_add_u32 v89, v102, 5, 0
	;; [unrolled: 1-line block ×4, first 2 shown]
	ds_load_b128 v[0:3], v108 offset:9408
	ds_load_b128 v[4:7], v108
	ds_load_b128 v[8:11], v108 offset:896
	ds_load_b128 v[12:15], v108 offset:10304
	;; [unrolled: 1-line block ×20, first 2 shown]
	s_wait_dscnt 0x14
	v_add_f64_e64 v[109:110], v[4:5], -v[0:1]
	v_add_f64_e64 v[111:112], v[6:7], -v[2:3]
	s_wait_dscnt 0x12
	v_add_f64_e64 v[12:13], v[8:9], -v[12:13]
	v_add_f64_e64 v[14:15], v[10:11], -v[14:15]
	;; [unrolled: 3-line block ×9, first 2 shown]
	s_wait_dscnt 0x1
	v_add_f64_e64 v[80:81], v[76:77], -v[80:81]
	s_wait_dscnt 0x0
	v_add_f64_e64 v[0:1], v[68:69], -v[84:85]
	v_add_f64_e64 v[2:3], v[70:71], -v[86:87]
	;; [unrolled: 1-line block ×3, first 2 shown]
	v_lshl_add_u32 v114, v99, 5, 0
	v_cmp_gt_u32_e64 s0, 28, v92
	v_add_nc_u32_e32 v98, v108, v93
	global_wb scope:SCOPE_SE
	s_barrier_signal -1
	s_barrier_wait -1
	global_inv scope:SCOPE_SE
	v_fma_f64 v[84:85], v[4:5], 2.0, -v[109:110]
	v_fma_f64 v[86:87], v[6:7], 2.0, -v[111:112]
	;; [unrolled: 1-line block ×22, first 2 shown]
	v_lshl_add_u32 v68, v97, 5, 0
	v_lshl_add_u32 v69, v106, 5, 0
	;; [unrolled: 1-line block ×4, first 2 shown]
	ds_store_b128 v98, v[84:87]
	ds_store_b128 v98, v[109:112] offset:16
	ds_store_b128 v68, v[8:11]
	ds_store_b128 v68, v[12:15] offset:16
	;; [unrolled: 2-line block ×10, first 2 shown]
	s_and_saveexec_b32 s1, s0
	s_cbranch_execz .LBB0_15
; %bb.14:
	v_lshl_add_u32 v8, v96, 5, 0
	ds_store_b128 v8, v[4:7]
	ds_store_b128 v8, v[0:3] offset:16
.LBB0_15:
	s_wait_alu 0xfffe
	s_or_b32 exec_lo, exec_lo, s1
	v_lshlrev_b32_e32 v116, 4, v102
	v_lshlrev_b32_e32 v115, 4, v103
	;; [unrolled: 1-line block ×5, first 2 shown]
	v_lshl_add_u32 v110, v104, 4, 0
	v_sub_nc_u32_e32 v28, v89, v116
	v_sub_nc_u32_e32 v20, v88, v115
	v_sub_nc_u32_e32 v29, v90, v117
	v_lshl_add_u32 v112, v106, 4, 0
	v_lshl_add_u32 v111, v105, 4, 0
	v_sub_nc_u32_e32 v32, v91, v118
	v_sub_nc_u32_e32 v33, v114, v126
	global_wb scope:SCOPE_SE
	s_wait_dscnt 0x0
	s_barrier_signal -1
	s_barrier_wait -1
	global_inv scope:SCOPE_SE
	ds_load_b128 v[8:11], v108
	ds_load_b128 v[48:51], v108 offset:9408
	v_lshl_add_u32 v113, v97, 4, 0
	ds_load_b128 v[56:59], v108 offset:10304
	ds_load_b128 v[52:55], v108 offset:11200
	ds_load_b128 v[16:19], v112
	ds_load_b128 v[12:15], v111
	ds_load_b128 v[64:67], v108 offset:12096
	ds_load_b128 v[60:63], v108 offset:12992
	ds_load_b128 v[24:27], v110
	ds_load_b128 v[20:23], v20
	;; [unrolled: 4-line block ×4, first 2 shown]
	ds_load_b128 v[44:47], v113
	ds_load_b128 v[84:87], v108 offset:17472
	v_lshlrev_b32_e32 v125, 1, v97
	v_lshlrev_b32_e32 v124, 1, v106
	;; [unrolled: 1-line block ×9, first 2 shown]
	v_lshl_add_u32 v109, v96, 4, 0
	s_and_saveexec_b32 s1, s0
	s_cbranch_execz .LBB0_17
; %bb.16:
	ds_load_b128 v[4:7], v109
	ds_load_b128 v[0:3], v108 offset:18368
.LBB0_17:
	s_wait_alu 0xfffe
	s_or_b32 exec_lo, exec_lo, s1
	v_and_b32_e32 v128, 1, v92
	s_delay_alu instid0(VALU_DEP_1)
	v_lshlrev_b32_e32 v127, 4, v128
	global_load_b128 v[129:132], v127, s[4:5]
	v_lshlrev_b32_e32 v127, 1, v92
	global_wb scope:SCOPE_SE
	s_wait_loadcnt_dscnt 0x0
	s_barrier_signal -1
	s_barrier_wait -1
	global_inv scope:SCOPE_SE
	v_mul_f64_e32 v[133:134], v[50:51], v[131:132]
	v_mul_f64_e32 v[135:136], v[48:49], v[131:132]
	;; [unrolled: 1-line block ×22, first 2 shown]
	v_fma_f64 v[48:49], v[48:49], v[129:130], -v[133:134]
	v_fma_f64 v[50:51], v[50:51], v[129:130], v[135:136]
	v_fma_f64 v[56:57], v[56:57], v[129:130], -v[137:138]
	v_fma_f64 v[58:59], v[58:59], v[129:130], v[139:140]
	;; [unrolled: 2-line block ×11, first 2 shown]
	v_and_or_b32 v87, 0x1fc, v124, v128
	s_delay_alu instid0(VALU_DEP_1)
	v_lshl_add_u32 v87, v87, 4, 0
	v_add_f64_e64 v[52:53], v[8:9], -v[48:49]
	v_add_f64_e64 v[54:55], v[10:11], -v[50:51]
	;; [unrolled: 1-line block ×22, first 2 shown]
	v_and_or_b32 v85, 0x7c, v127, v128
	v_and_or_b32 v86, 0xfc, v125, v128
	v_sub_nc_u32_e32 v64, 0, v115
	v_sub_nc_u32_e32 v51, 0, v116
	;; [unrolled: 1-line block ×5, first 2 shown]
	v_lshlrev_b32_e32 v126, 1, v96
	v_and_or_b32 v115, 0x1fc, v123, v128
	v_and_or_b32 v116, 0x3fc, v122, v128
	;; [unrolled: 1-line block ×7, first 2 shown]
	v_lshl_add_u32 v85, v85, 4, 0
	v_fma_f64 v[8:9], v[8:9], 2.0, -v[52:53]
	v_fma_f64 v[10:11], v[10:11], 2.0, -v[54:55]
	;; [unrolled: 1-line block ×22, first 2 shown]
	v_lshl_add_u32 v86, v86, 4, 0
	v_lshl_add_u32 v115, v115, 4, 0
	;; [unrolled: 1-line block ×8, first 2 shown]
	ds_store_b128 v85, v[8:11]
	ds_store_b128 v85, v[52:55] offset:32
	ds_store_b128 v86, v[44:47]
	ds_store_b128 v86, v[56:59] offset:32
	;; [unrolled: 2-line block ×10, first 2 shown]
	s_and_saveexec_b32 s1, s0
	s_cbranch_execz .LBB0_19
; %bb.18:
	v_and_or_b32 v8, 0x4fc, v126, v128
	s_delay_alu instid0(VALU_DEP_1)
	v_lshl_add_u32 v8, v8, 4, 0
	ds_store_b128 v8, v[4:7]
	ds_store_b128 v8, v[0:3] offset:32
.LBB0_19:
	s_wait_alu 0xfffe
	s_or_b32 exec_lo, exec_lo, s1
	v_add_nc_u32_e32 v117, v89, v51
	v_add_nc_u32_e32 v116, v90, v50
	;; [unrolled: 1-line block ×3, first 2 shown]
	global_wb scope:SCOPE_SE
	s_wait_dscnt 0x0
	s_barrier_signal -1
	s_barrier_wait -1
	global_inv scope:SCOPE_SE
	ds_load_b128 v[8:11], v108
	ds_load_b128 v[52:55], v108 offset:9408
	ds_load_b128 v[56:59], v108 offset:10304
	;; [unrolled: 1-line block ×3, first 2 shown]
	v_add_nc_u32_e32 v118, v88, v64
	ds_load_b128 v[20:23], v112
	ds_load_b128 v[12:15], v111
	ds_load_b128 v[68:71], v108 offset:12096
	ds_load_b128 v[64:67], v108 offset:12992
	ds_load_b128 v[24:27], v110
	ds_load_b128 v[16:19], v118
	ds_load_b128 v[76:79], v108 offset:13888
	ds_load_b128 v[72:75], v108 offset:14784
	v_add_nc_u32_e32 v114, v114, v48
	ds_load_b128 v[36:39], v117
	ds_load_b128 v[28:31], v116
	ds_load_b128 v[84:87], v108 offset:15680
	ds_load_b128 v[80:83], v108 offset:16576
	ds_load_b128 v[40:43], v115
	ds_load_b128 v[32:35], v114
	;; [unrolled: 1-line block ×3, first 2 shown]
	ds_load_b128 v[88:91], v108 offset:17472
	s_and_saveexec_b32 s1, s0
	s_cbranch_execz .LBB0_21
; %bb.20:
	ds_load_b128 v[4:7], v109
	ds_load_b128 v[0:3], v108 offset:18368
.LBB0_21:
	s_wait_alu 0xfffe
	s_or_b32 exec_lo, exec_lo, s1
	v_and_b32_e32 v128, 3, v92
	s_delay_alu instid0(VALU_DEP_1)
	v_lshlrev_b32_e32 v48, 4, v128
	v_and_or_b32 v127, 0x78, v127, v128
	v_and_or_b32 v125, 0xf8, v125, v128
	;; [unrolled: 1-line block ×4, first 2 shown]
	global_load_b128 v[48:51], v48, s[4:5] offset:32
	v_and_or_b32 v122, 0x3f8, v122, v128
	v_and_or_b32 v121, 0x2f8, v121, v128
	;; [unrolled: 1-line block ×6, first 2 shown]
	v_lshl_add_u32 v127, v127, 4, 0
	v_lshl_add_u32 v125, v125, 4, 0
	;; [unrolled: 1-line block ×3, first 2 shown]
	global_wb scope:SCOPE_SE
	s_wait_loadcnt_dscnt 0x0
	s_barrier_signal -1
	s_barrier_wait -1
	global_inv scope:SCOPE_SE
	v_lshl_add_u32 v123, v123, 4, 0
	v_lshl_add_u32 v122, v122, 4, 0
	;; [unrolled: 1-line block ×7, first 2 shown]
	v_mul_f64_e32 v[129:130], v[54:55], v[50:51]
	v_mul_f64_e32 v[131:132], v[52:53], v[50:51]
	v_mul_f64_e32 v[133:134], v[58:59], v[50:51]
	v_mul_f64_e32 v[135:136], v[56:57], v[50:51]
	v_mul_f64_e32 v[137:138], v[62:63], v[50:51]
	v_mul_f64_e32 v[139:140], v[60:61], v[50:51]
	v_mul_f64_e32 v[141:142], v[70:71], v[50:51]
	v_mul_f64_e32 v[143:144], v[68:69], v[50:51]
	v_mul_f64_e32 v[145:146], v[66:67], v[50:51]
	v_mul_f64_e32 v[147:148], v[64:65], v[50:51]
	v_mul_f64_e32 v[149:150], v[78:79], v[50:51]
	v_mul_f64_e32 v[151:152], v[76:77], v[50:51]
	v_mul_f64_e32 v[153:154], v[74:75], v[50:51]
	v_mul_f64_e32 v[155:156], v[72:73], v[50:51]
	v_mul_f64_e32 v[157:158], v[86:87], v[50:51]
	v_mul_f64_e32 v[159:160], v[84:85], v[50:51]
	v_mul_f64_e32 v[161:162], v[82:83], v[50:51]
	v_mul_f64_e32 v[163:164], v[80:81], v[50:51]
	v_mul_f64_e32 v[165:166], v[90:91], v[50:51]
	v_mul_f64_e32 v[167:168], v[88:89], v[50:51]
	v_fma_f64 v[52:53], v[52:53], v[48:49], -v[129:130]
	v_fma_f64 v[54:55], v[54:55], v[48:49], v[131:132]
	v_fma_f64 v[56:57], v[56:57], v[48:49], -v[133:134]
	v_fma_f64 v[58:59], v[58:59], v[48:49], v[135:136]
	;; [unrolled: 2-line block ×10, first 2 shown]
	v_add_f64_e64 v[52:53], v[8:9], -v[52:53]
	v_add_f64_e64 v[54:55], v[10:11], -v[54:55]
	;; [unrolled: 1-line block ×20, first 2 shown]
	v_fma_f64 v[8:9], v[8:9], 2.0, -v[52:53]
	v_fma_f64 v[10:11], v[10:11], 2.0, -v[54:55]
	;; [unrolled: 1-line block ×20, first 2 shown]
	ds_store_b128 v127, v[52:55] offset:64
	ds_store_b128 v127, v[8:11]
	ds_store_b128 v125, v[44:47]
	ds_store_b128 v125, v[56:59] offset:64
	ds_store_b128 v124, v[20:23]
	ds_store_b128 v124, v[60:63] offset:64
	;; [unrolled: 2-line block ×9, first 2 shown]
	s_and_saveexec_b32 s1, s0
	s_cbranch_execz .LBB0_23
; %bb.22:
	v_mul_f64_e32 v[8:9], v[0:1], v[50:51]
	v_mul_f64_e32 v[10:11], v[2:3], v[50:51]
	s_delay_alu instid0(VALU_DEP_2) | instskip(NEXT) | instid1(VALU_DEP_2)
	v_fma_f64 v[2:3], v[2:3], v[48:49], v[8:9]
	v_fma_f64 v[0:1], v[0:1], v[48:49], -v[10:11]
	v_and_or_b32 v8, 0x4f8, v126, v128
	s_delay_alu instid0(VALU_DEP_1) | instskip(NEXT) | instid1(VALU_DEP_4)
	v_lshl_add_u32 v8, v8, 4, 0
	v_add_f64_e64 v[2:3], v[6:7], -v[2:3]
	s_delay_alu instid0(VALU_DEP_4) | instskip(NEXT) | instid1(VALU_DEP_2)
	v_add_f64_e64 v[0:1], v[4:5], -v[0:1]
	v_fma_f64 v[6:7], v[6:7], 2.0, -v[2:3]
	s_delay_alu instid0(VALU_DEP_2)
	v_fma_f64 v[4:5], v[4:5], 2.0, -v[0:1]
	ds_store_b128 v8, v[4:7]
	ds_store_b128 v8, v[0:3] offset:64
.LBB0_23:
	s_wait_alu 0xfffe
	s_or_b32 exec_lo, exec_lo, s1
	v_and_b32_e32 v98, 7, v92
	global_wb scope:SCOPE_SE
	s_wait_dscnt 0x0
	s_barrier_signal -1
	s_barrier_wait -1
	global_inv scope:SCOPE_SE
	v_lshlrev_b32_e32 v0, 5, v98
	v_lshrrev_b32_e32 v172, 3, v106
	v_and_b32_e32 v177, 0xff, v92
	v_and_b32_e32 v178, 0xff, v97
	v_lshrrev_b32_e32 v171, 3, v97
	s_clause 0x1
	global_load_b128 v[32:35], v0, s[4:5] offset:96
	global_load_b128 v[28:31], v0, s[4:5] offset:112
	ds_load_b128 v[76:79], v116
	ds_load_b128 v[80:83], v108 offset:12544
	ds_load_b128 v[24:27], v108
	ds_load_b128 v[68:71], v108 offset:7168
	ds_load_b128 v[20:23], v113
	ds_load_b128 v[12:15], v112
	ds_load_b128 v[88:91], v108 offset:13440
	ds_load_b128 v[56:59], v108 offset:14336
	ds_load_b128 v[84:87], v108 offset:8064
	ds_load_b128 v[52:55], v108 offset:8960
	ds_load_b128 v[16:19], v111
	ds_load_b128 v[4:7], v110
	ds_load_b128 v[72:75], v108 offset:15232
	ds_load_b128 v[48:51], v108 offset:16128
	ds_load_b128 v[60:63], v108 offset:9856
	;; [unrolled: 6-line block ×3, first 2 shown]
	v_lshrrev_b32_e32 v173, 3, v105
	v_lshrrev_b32_e32 v174, 3, v104
	v_mul_lo_u32 v171, v171, 24
	v_lshrrev_b32_e32 v175, 3, v103
	v_lshrrev_b32_e32 v176, 3, v102
	v_mul_lo_u32 v179, v173, 24
	v_mul_lo_u32 v180, v174, 24
	s_mov_b32 s2, 0xe8584caa
	v_mul_lo_u32 v181, v175, 24
	v_mul_lo_u32 v182, v176, 24
	v_or_b32_e32 v183, v171, v98
	s_mov_b32 s3, 0x3febb67a
	s_mov_b32 s7, 0xbfebb67a
	s_wait_alu 0xfffe
	s_mov_b32 s6, s2
	v_lshrrev_b32_e32 v107, 3, v92
	global_wb scope:SCOPE_SE
	s_wait_loadcnt_dscnt 0x0
	s_barrier_signal -1
	s_barrier_wait -1
	global_inv scope:SCOPE_SE
	v_mul_u32_u24_e32 v107, 24, v107
	s_mov_b32 s12, 0x37e14327
	s_mov_b32 s18, 0xe976ee23
	;; [unrolled: 1-line block ×4, first 2 shown]
	v_or_b32_e32 v107, v107, v98
	s_mov_b32 s10, 0xaaaaaaaa
	s_mov_b32 s14, 0x5476071b
	;; [unrolled: 1-line block ×7, first 2 shown]
	s_wait_alu 0xfffe
	s_mov_b32 s16, s14
	s_mov_b32 s23, 0xbfd5d0dc
	;; [unrolled: 1-line block ×5, first 2 shown]
	v_mul_f64_e32 v[119:120], v[78:79], v[34:35]
	v_mul_f64_e32 v[121:122], v[82:83], v[30:31]
	;; [unrolled: 1-line block ×28, first 2 shown]
	v_fma_f64 v[76:77], v[76:77], v[32:33], -v[119:120]
	v_fma_f64 v[80:81], v[80:81], v[28:29], -v[121:122]
	v_fma_f64 v[78:79], v[78:79], v[32:33], v[123:124]
	v_fma_f64 v[82:83], v[82:83], v[28:29], v[125:126]
	v_fma_f64 v[68:69], v[68:69], v[32:33], -v[127:128]
	v_fma_f64 v[88:89], v[88:89], v[28:29], -v[129:130]
	v_fma_f64 v[70:71], v[70:71], v[32:33], v[131:132]
	v_fma_f64 v[90:91], v[90:91], v[28:29], v[133:134]
	;; [unrolled: 4-line block ×7, first 2 shown]
	v_mul_lo_u32 v123, v172, 24
	v_mul_lo_u16 v28, 0xab, v177
	v_mul_lo_u16 v119, 0xab, v178
	s_delay_alu instid0(VALU_DEP_2) | instskip(NEXT) | instid1(VALU_DEP_2)
	v_lshrrev_b16 v29, 12, v28
	v_lshrrev_b16 v28, 12, v119
	v_or_b32_e32 v184, v123, v98
	v_add_f64_e32 v[127:128], v[24:25], v[76:77]
	v_add_f64_e32 v[30:31], v[76:77], v[80:81]
	v_add_f64_e64 v[76:77], v[76:77], -v[80:81]
	v_add_f64_e32 v[38:39], v[78:79], v[82:83]
	v_add_f64_e32 v[139:140], v[20:21], v[68:69]
	v_add_f64_e32 v[46:47], v[68:69], v[88:89]
	v_add_f64_e64 v[131:132], v[78:79], -v[82:83]
	v_add_f64_e32 v[119:120], v[70:71], v[90:91]
	;; [unrolled: 4-line block ×5, first 2 shown]
	v_add_f64_e32 v[157:158], v[4:5], v[60:61]
	v_add_f64_e32 v[137:138], v[40:41], v[64:65]
	;; [unrolled: 1-line block ×11, first 2 shown]
	v_add_f64_e64 v[86:87], v[86:87], -v[58:59]
	v_add_f64_e64 v[84:85], v[84:85], -v[56:57]
	v_add_f64_e32 v[161:162], v[8:9], v[40:41]
	v_add_f64_e32 v[163:164], v[10:11], v[42:43]
	v_add_f64_e64 v[173:174], v[40:41], -v[64:65]
	v_add_f64_e64 v[175:176], v[32:33], -v[34:35]
	;; [unrolled: 1-line block ×3, first 2 shown]
	v_mul_lo_u16 v185, v29, 24
	v_fma_f64 v[169:170], v[30:31], -0.5, v[24:25]
	v_fma_f64 v[25:26], v[38:39], -0.5, v[26:27]
	v_or_b32_e32 v27, v181, v98
	v_fma_f64 v[46:47], v[46:47], -0.5, v[20:21]
	v_fma_f64 v[54:55], v[119:120], -0.5, v[22:23]
	v_add_f64_e64 v[119:120], v[52:53], -v[72:73]
	v_fma_f64 v[52:53], v[121:122], -0.5, v[12:13]
	v_add_f64_e64 v[121:122], v[62:63], -v[50:51]
	;; [unrolled: 2-line block ×4, first 2 shown]
	v_fma_f64 v[129:130], v[129:130], -0.5, v[18:19]
	v_add_f64_e32 v[15:16], v[155:156], v[74:75]
	v_fma_f64 v[133:134], v[133:134], -0.5, v[4:5]
	v_add_f64_e32 v[4:5], v[127:128], v[80:81]
	;; [unrolled: 2-line block ×7, first 2 shown]
	v_add_f64_e32 v[2:3], v[70:71], v[90:91]
	v_add_f64_e32 v[9:10], v[149:150], v[56:57]
	;; [unrolled: 1-line block ×7, first 2 shown]
	v_sub_nc_u16 v8, v92, v185
	v_or_b32_e32 v90, v182, v98
	v_lshl_add_u32 v91, v107, 4, 0
	v_fma_f64 v[34:35], v[131:132], s[2:3], v[169:170]
	v_fma_f64 v[38:39], v[131:132], s[6:7], v[169:170]
	;; [unrolled: 1-line block ×28, first 2 shown]
	v_and_b32_e32 v8, 0xff, v8
	v_or_b32_e32 v25, v179, v98
	v_or_b32_e32 v26, v180, v98
	v_mul_lo_u16 v98, v28, 24
	v_lshl_add_u32 v107, v183, 4, 0
	v_mul_u32_u24_e32 v120, 6, v8
	v_lshl_add_u32 v119, v184, 4, 0
	v_lshl_add_u32 v25, v25, 4, 0
	;; [unrolled: 1-line block ×4, first 2 shown]
	v_lshlrev_b32_e32 v120, 4, v120
	v_lshl_add_u32 v90, v90, 4, 0
	v_sub_nc_u16 v98, v97, v98
	ds_store_b128 v91, v[4:7]
	ds_store_b128 v91, v[34:37] offset:128
	ds_store_b128 v91, v[38:41] offset:256
	ds_store_b128 v107, v[0:3]
	ds_store_b128 v107, v[42:45] offset:128
	ds_store_b128 v107, v[46:49] offset:256
	;; [unrolled: 3-line block ×7, first 2 shown]
	global_wb scope:SCOPE_SE
	s_wait_dscnt 0x0
	s_barrier_signal -1
	s_barrier_wait -1
	global_inv scope:SCOPE_SE
	global_load_b128 v[0:3], v120, s[4:5] offset:352
	v_and_b32_e32 v9, 0xff, v98
	s_clause 0x2
	global_load_b128 v[4:7], v120, s[4:5] offset:368
	global_load_b128 v[12:15], v120, s[4:5] offset:416
	;; [unrolled: 1-line block ×3, first 2 shown]
	v_and_b32_e32 v11, 0xff, v106
	v_mul_u32_u24_e32 v10, 6, v9
	s_mov_b32 s2, 0x36b3c0b5
	s_mov_b32 s3, 0x3fac98ee
	;; [unrolled: 1-line block ×4, first 2 shown]
	v_lshlrev_b32_e32 v66, 4, v10
	v_mul_lo_u16 v10, 0xab, v11
	v_and_b32_e32 v98, 0xffff, v29
	v_and_b32_e32 v107, 0xffff, v28
	v_lshlrev_b32_e32 v8, 4, v8
	s_clause 0x1
	global_load_b128 v[20:23], v66, s[4:5] offset:352
	global_load_b128 v[24:27], v66, s[4:5] offset:368
	v_lshrrev_b16 v11, 12, v10
	s_clause 0x2
	global_load_b128 v[30:33], v66, s[4:5] offset:416
	global_load_b128 v[34:37], v120, s[4:5] offset:384
	;; [unrolled: 1-line block ×3, first 2 shown]
	v_lshlrev_b32_e32 v9, 4, v9
	v_mul_lo_u16 v10, v11, 24
	v_and_b32_e32 v11, 0xffff, v11
	s_delay_alu instid0(VALU_DEP_2) | instskip(NEXT) | instid1(VALU_DEP_2)
	v_sub_nc_u16 v10, v106, v10
	v_mul_u32_u24_e32 v11, 0xa80, v11
	s_delay_alu instid0(VALU_DEP_2) | instskip(NEXT) | instid1(VALU_DEP_1)
	v_and_b32_e32 v10, 0xff, v10
	v_mul_u32_u24_e32 v42, 6, v10
	v_lshlrev_b32_e32 v10, 4, v10
	s_delay_alu instid0(VALU_DEP_2)
	v_lshlrev_b32_e32 v74, 4, v42
	s_clause 0x8
	global_load_b128 v[42:45], v120, s[4:5] offset:400
	global_load_b128 v[46:49], v74, s[4:5] offset:352
	;; [unrolled: 1-line block ×9, first 2 shown]
	ds_load_b128 v[78:81], v111
	ds_load_b128 v[82:85], v117
	ds_load_b128 v[86:89], v108 offset:13440
	ds_load_b128 v[119:122], v108 offset:16128
	;; [unrolled: 1-line block ×6, first 2 shown]
	ds_load_b128 v[139:142], v108
	ds_load_b128 v[143:146], v114
	ds_load_b128 v[147:150], v108 offset:4480
	ds_load_b128 v[151:154], v108 offset:17024
	;; [unrolled: 1-line block ×4, first 2 shown]
	v_add3_u32 v10, 0, v11, v10
	s_wait_loadcnt_dscnt 0x110d
	v_mul_f64_e32 v[90:91], v[80:81], v[2:3]
	v_mul_f64_e32 v[2:3], v[78:79], v[2:3]
	s_wait_loadcnt_dscnt 0x100c
	v_mul_f64_e32 v[163:164], v[84:85], v[6:7]
	s_wait_loadcnt_dscnt 0xf0b
	;; [unrolled: 2-line block ×3, first 2 shown]
	v_mul_f64_e32 v[167:168], v[121:122], v[18:19]
	v_mul_f64_e32 v[6:7], v[82:83], v[6:7]
	;; [unrolled: 1-line block ×4, first 2 shown]
	s_wait_loadcnt_dscnt 0xd09
	v_mul_f64_e32 v[169:170], v[125:126], v[22:23]
	v_mul_f64_e32 v[22:23], v[123:124], v[22:23]
	s_wait_loadcnt_dscnt 0xc08
	v_mul_f64_e32 v[171:172], v[129:130], v[26:27]
	v_mul_f64_e32 v[26:27], v[127:128], v[26:27]
	s_wait_loadcnt_dscnt 0xb07
	v_mul_f64_e32 v[173:174], v[133:134], v[32:33]
	v_mul_f64_e32 v[32:33], v[131:132], v[32:33]
	s_wait_loadcnt_dscnt 0x902
	v_mul_f64_e32 v[177:178], v[153:154], v[40:41]
	v_mul_f64_e32 v[40:41], v[151:152], v[40:41]
	v_fma_f64 v[90:91], v[78:79], v[0:1], -v[90:91]
	v_fma_f64 v[175:176], v[80:81], v[0:1], v[2:3]
	ds_load_b128 v[0:3], v108 offset:8960
	ds_load_b128 v[78:81], v108 offset:17920
	v_fma_f64 v[82:83], v[82:83], v[4:5], -v[163:164]
	v_mul_f64_e32 v[163:164], v[145:146], v[36:37]
	v_fma_f64 v[86:87], v[86:87], v[12:13], -v[165:166]
	v_mul_f64_e32 v[36:37], v[143:144], v[36:37]
	s_wait_loadcnt_dscnt 0x803
	v_mul_f64_e32 v[165:166], v[157:158], v[44:45]
	v_mul_f64_e32 v[44:45], v[155:156], v[44:45]
	s_wait_loadcnt 0x7
	v_mul_f64_e32 v[179:180], v[149:150], v[48:49]
	v_fma_f64 v[119:120], v[119:120], v[16:17], -v[167:168]
	v_mul_f64_e32 v[48:49], v[147:148], v[48:49]
	s_wait_loadcnt_dscnt 0x602
	v_mul_f64_e32 v[167:168], v[161:162], v[52:53]
	v_fma_f64 v[84:85], v[84:85], v[4:5], v[6:7]
	ds_load_b128 v[4:7], v108 offset:9856
	v_fma_f64 v[88:89], v[88:89], v[12:13], v[14:15]
	ds_load_b128 v[12:15], v108 offset:11648
	v_fma_f64 v[123:124], v[123:124], v[20:21], -v[169:170]
	v_fma_f64 v[20:21], v[125:126], v[20:21], v[22:23]
	v_mul_f64_e32 v[22:23], v[159:160], v[52:53]
	s_wait_loadcnt 0x5
	v_mul_f64_e32 v[52:53], v[137:138], v[56:57]
	v_fma_f64 v[127:128], v[127:128], v[24:25], -v[171:172]
	s_wait_loadcnt_dscnt 0x402
	v_mul_f64_e32 v[125:126], v[80:81], v[60:61]
	v_mul_f64_e32 v[60:61], v[78:79], v[60:61]
	v_fma_f64 v[24:25], v[129:130], v[24:25], v[26:27]
	v_mul_f64_e32 v[26:27], v[135:136], v[56:57]
	v_fma_f64 v[121:122], v[121:122], v[16:17], v[18:19]
	ds_load_b128 v[16:19], v108 offset:12544
	s_wait_loadcnt 0x3
	v_mul_f64_e32 v[56:57], v[2:3], v[64:65]
	v_fma_f64 v[129:130], v[131:132], v[30:31], -v[173:174]
	v_fma_f64 v[30:31], v[133:134], v[30:31], v[32:33]
	v_mul_f64_e32 v[32:33], v[0:1], v[64:65]
	v_fma_f64 v[133:134], v[151:152], v[38:39], -v[177:178]
	v_fma_f64 v[38:39], v[153:154], v[38:39], v[40:41]
	s_wait_loadcnt_dscnt 0x102
	v_mul_f64_e32 v[131:132], v[6:7], v[72:73]
	v_mul_f64_e32 v[40:41], v[4:5], v[72:73]
	s_wait_dscnt 0x1
	v_mul_f64_e32 v[64:65], v[14:15], v[68:69]
	v_mul_f64_e32 v[68:69], v[12:13], v[68:69]
	v_fma_f64 v[143:144], v[143:144], v[34:35], -v[163:164]
	v_fma_f64 v[34:35], v[145:146], v[34:35], v[36:37]
	v_fma_f64 v[36:37], v[155:156], v[42:43], -v[165:166]
	v_fma_f64 v[42:43], v[157:158], v[42:43], v[44:45]
	s_wait_loadcnt_dscnt 0x0
	v_mul_f64_e32 v[72:73], v[18:19], v[76:77]
	v_mul_f64_e32 v[76:77], v[16:17], v[76:77]
	v_fma_f64 v[44:45], v[147:148], v[46:47], -v[179:180]
	v_fma_f64 v[46:47], v[149:150], v[46:47], v[48:49]
	v_fma_f64 v[48:49], v[159:160], v[50:51], -v[167:168]
	v_fma_f64 v[22:23], v[161:162], v[50:51], v[22:23]
	v_fma_f64 v[50:51], v[135:136], v[54:55], -v[52:53]
	v_fma_f64 v[52:53], v[78:79], v[58:59], -v[125:126]
	v_fma_f64 v[58:59], v[80:81], v[58:59], v[60:61]
	v_fma_f64 v[26:27], v[137:138], v[54:55], v[26:27]
	v_add_f64_e32 v[60:61], v[175:176], v[121:122]
	v_fma_f64 v[0:1], v[0:1], v[62:63], -v[56:57]
	v_add_f64_e32 v[56:57], v[90:91], v[119:120]
	v_add_f64_e64 v[90:91], v[90:91], -v[119:120]
	v_fma_f64 v[2:3], v[2:3], v[62:63], v[32:33]
	v_add_f64_e32 v[62:63], v[82:83], v[86:87]
	v_add_f64_e64 v[119:120], v[175:176], -v[121:122]
	v_fma_f64 v[40:41], v[6:7], v[70:71], v[40:41]
	v_fma_f64 v[32:33], v[12:13], v[66:67], -v[64:65]
	v_add_f64_e32 v[64:65], v[84:85], v[88:89]
	v_fma_f64 v[54:55], v[14:15], v[66:67], v[68:69]
	v_fma_f64 v[66:67], v[4:5], v[70:71], -v[131:132]
	v_add_f64_e32 v[68:69], v[123:124], v[133:134]
	v_add_f64_e32 v[70:71], v[20:21], v[38:39]
	v_add_f64_e64 v[20:21], v[20:21], -v[38:39]
	ds_load_b128 v[4:7], v113
	ds_load_b128 v[12:15], v112
	global_wb scope:SCOPE_SE
	s_wait_dscnt 0x0
	v_add_f64_e32 v[78:79], v[143:144], v[36:37]
	v_add_f64_e32 v[80:81], v[34:35], v[42:43]
	v_fma_f64 v[16:17], v[16:17], v[74:75], -v[72:73]
	v_fma_f64 v[18:19], v[18:19], v[74:75], v[76:77]
	v_add_f64_e32 v[72:73], v[127:128], v[129:130]
	v_add_f64_e32 v[74:75], v[24:25], v[30:31]
	v_add_f64_e64 v[76:77], v[82:83], -v[86:87]
	v_add_f64_e64 v[82:83], v[84:85], -v[88:89]
	;; [unrolled: 1-line block ×6, first 2 shown]
	s_barrier_signal -1
	v_add_f64_e32 v[86:87], v[48:49], v[50:51]
	s_barrier_wait -1
	v_add_f64_e32 v[42:43], v[44:45], v[52:53]
	v_add_f64_e32 v[84:85], v[46:47], v[58:59]
	v_add_f64_e64 v[38:39], v[44:45], -v[52:53]
	v_add_f64_e32 v[88:89], v[22:23], v[26:27]
	v_add_f64_e64 v[44:45], v[46:47], -v[58:59]
	v_add_f64_e64 v[46:47], v[48:49], -v[50:51]
	;; [unrolled: 1-line block ×3, first 2 shown]
	global_inv scope:SCOPE_SE
	v_add_f64_e32 v[30:31], v[62:63], v[56:57]
	v_add_f64_e32 v[121:122], v[0:1], v[32:33]
	v_add_f64_e64 v[0:1], v[32:33], -v[0:1]
	v_add_f64_e32 v[32:33], v[64:65], v[60:61]
	v_add_f64_e32 v[125:126], v[2:3], v[54:55]
	v_add_f64_e64 v[2:3], v[54:55], -v[2:3]
	v_add_f64_e64 v[54:55], v[123:124], -v[133:134]
	;; [unrolled: 1-line block ×4, first 2 shown]
	v_add_f64_e32 v[26:27], v[66:67], v[16:17]
	v_add_f64_e32 v[48:49], v[40:41], v[18:19]
	;; [unrolled: 1-line block ×4, first 2 shown]
	v_add_f64_e64 v[16:17], v[16:17], -v[66:67]
	v_add_f64_e64 v[18:19], v[18:19], -v[40:41]
	;; [unrolled: 1-line block ×8, first 2 shown]
	v_add_f64_e32 v[66:67], v[36:37], v[76:77]
	v_add_f64_e32 v[131:132], v[86:87], v[42:43]
	;; [unrolled: 1-line block ×3, first 2 shown]
	v_add_f64_e64 v[76:77], v[76:77], -v[90:91]
	v_add_f64_e32 v[133:134], v[88:89], v[84:85]
	v_add_f64_e64 v[82:83], v[82:83], -v[119:120]
	v_add_f64_e64 v[137:138], v[72:73], -v[68:69]
	;; [unrolled: 1-line block ×6, first 2 shown]
	v_add_f64_e32 v[30:31], v[78:79], v[30:31]
	v_add_f64_e64 v[34:35], v[119:120], -v[34:35]
	v_add_f64_e64 v[68:69], v[68:69], -v[121:122]
	v_add_f64_e32 v[145:146], v[0:1], v[127:128]
	v_add_f64_e32 v[32:33], v[80:81], v[32:33]
	v_add_f64_e64 v[70:71], v[70:71], -v[125:126]
	v_add_f64_e64 v[80:81], v[0:1], -v[127:128]
	;; [unrolled: 1-line block ×3, first 2 shown]
	v_add_f64_e32 v[78:79], v[2:3], v[24:25]
	v_add_f64_e64 v[127:128], v[127:128], -v[54:55]
	v_add_f64_e64 v[24:25], v[24:25], -v[20:21]
	;; [unrolled: 1-line block ×6, first 2 shown]
	v_add_f64_e32 v[50:51], v[121:122], v[50:51]
	v_add_f64_e32 v[52:53], v[125:126], v[52:53]
	;; [unrolled: 1-line block ×3, first 2 shown]
	v_add_f64_e64 v[86:87], v[26:27], -v[86:87]
	v_add_f64_e64 v[125:126], v[16:17], -v[46:47]
	;; [unrolled: 1-line block ×4, first 2 shown]
	v_add_f64_e32 v[121:122], v[18:19], v[22:23]
	v_add_f64_e64 v[46:47], v[46:47], -v[38:39]
	v_add_f64_e64 v[22:23], v[22:23], -v[44:45]
	;; [unrolled: 1-line block ×3, first 2 shown]
	v_add_f64_e32 v[26:27], v[26:27], v[131:132]
	v_add_f64_e64 v[151:152], v[20:21], -v[2:3]
	v_mul_f64_e32 v[56:57], s[12:13], v[56:57]
	v_add_f64_e32 v[48:49], v[48:49], v[133:134]
	v_mul_f64_e32 v[60:61], s[12:13], v[60:61]
	s_wait_alu 0xfffe
	v_mul_f64_e32 v[131:132], s[2:3], v[62:63]
	v_mul_f64_e32 v[133:134], s[2:3], v[64:65]
	v_mul_f64_e32 v[129:130], s[18:19], v[129:130]
	v_mul_f64_e32 v[135:136], s[18:19], v[135:136]
	v_add_f64_e32 v[66:67], v[66:67], v[90:91]
	v_add_f64_e32 v[0:1], v[139:140], v[30:31]
	;; [unrolled: 1-line block ×3, first 2 shown]
	v_mul_f64_e32 v[119:120], s[6:7], v[76:77]
	v_mul_f64_e32 v[123:124], s[6:7], v[82:83]
	;; [unrolled: 1-line block ×3, first 2 shown]
	v_add_f64_e32 v[54:55], v[145:146], v[54:55]
	v_add_f64_e32 v[2:3], v[141:142], v[32:33]
	v_mul_f64_e32 v[70:71], s[12:13], v[70:71]
	v_mul_f64_e32 v[80:81], s[18:19], v[80:81]
	;; [unrolled: 1-line block ×3, first 2 shown]
	v_add_f64_e32 v[20:21], v[78:79], v[20:21]
	v_mul_f64_e32 v[78:79], s[6:7], v[127:128]
	v_mul_f64_e32 v[147:148], s[6:7], v[24:25]
	;; [unrolled: 1-line block ×4, first 2 shown]
	v_add_f64_e64 v[16:17], v[38:39], -v[16:17]
	v_add_f64_e64 v[18:19], v[44:45], -v[18:19]
	v_add_f64_e32 v[4:5], v[4:5], v[50:51]
	v_add_f64_e32 v[6:7], v[6:7], v[52:53]
	;; [unrolled: 1-line block ×3, first 2 shown]
	v_mul_f64_e32 v[42:43], s[12:13], v[42:43]
	v_mul_f64_e32 v[84:85], s[12:13], v[84:85]
	;; [unrolled: 1-line block ×4, first 2 shown]
	v_add_f64_e32 v[44:45], v[121:122], v[44:45]
	v_mul_f64_e32 v[161:162], s[6:7], v[46:47]
	v_mul_f64_e32 v[163:164], s[6:7], v[22:23]
	;; [unrolled: 1-line block ×3, first 2 shown]
	v_add_f64_e32 v[12:13], v[12:13], v[26:27]
	v_mul_f64_e32 v[159:160], s[2:3], v[88:89]
	v_fma_f64 v[62:63], v[62:63], s[2:3], v[56:57]
	v_add_f64_e32 v[14:15], v[14:15], v[48:49]
	v_fma_f64 v[64:65], v[64:65], s[2:3], v[60:61]
	v_fma_f64 v[131:132], v[40:41], s[14:15], -v[131:132]
	v_fma_f64 v[133:134], v[58:59], s[14:15], -v[133:134]
	;; [unrolled: 1-line block ×4, first 2 shown]
	v_fma_f64 v[58:59], v[36:37], s[20:21], v[129:130]
	v_fma_f64 v[60:61], v[34:35], s[20:21], v[135:136]
	;; [unrolled: 1-line block ×3, first 2 shown]
	v_fma_f64 v[36:37], v[36:37], s[22:23], -v[119:120]
	v_fma_f64 v[34:35], v[34:35], s[22:23], -v[123:124]
	;; [unrolled: 1-line block ×4, first 2 shown]
	v_fma_f64 v[32:33], v[32:33], s[10:11], v[2:3]
	v_fma_f64 v[72:73], v[72:73], s[2:3], v[68:69]
	v_fma_f64 v[74:75], v[74:75], s[2:3], v[70:71]
	v_fma_f64 v[129:130], v[149:150], s[20:21], v[80:81]
	v_fma_f64 v[135:136], v[151:152], s[20:21], v[145:146]
	v_fma_f64 v[68:69], v[137:138], s[16:17], -v[68:69]
	v_fma_f64 v[80:81], v[127:128], s[6:7], -v[80:81]
	v_fma_f64 v[78:79], v[149:150], s[22:23], -v[78:79]
	v_fma_f64 v[127:128], v[151:152], s[22:23], -v[147:148]
	v_fma_f64 v[70:71], v[143:144], s[16:17], -v[70:71]
	v_fma_f64 v[119:120], v[137:138], s[14:15], -v[139:140]
	v_fma_f64 v[50:51], v[50:51], s[10:11], v[4:5]
	v_fma_f64 v[52:53], v[52:53], s[10:11], v[6:7]
	v_fma_f64 v[123:124], v[143:144], s[14:15], -v[141:142]
	v_fma_f64 v[24:25], v[24:25], s[6:7], -v[145:146]
	v_fma_f64 v[86:87], v[86:87], s[2:3], v[42:43]
	v_fma_f64 v[88:89], v[88:89], s[2:3], v[84:85]
	;; [unrolled: 1-line block ×4, first 2 shown]
	v_fma_f64 v[16:17], v[16:17], s[22:23], -v[161:162]
	v_fma_f64 v[18:19], v[18:19], s[22:23], -v[163:164]
	;; [unrolled: 1-line block ×3, first 2 shown]
	v_fma_f64 v[26:27], v[26:27], s[10:11], v[12:13]
	v_fma_f64 v[84:85], v[155:156], s[16:17], -v[84:85]
	v_fma_f64 v[121:122], v[153:154], s[14:15], -v[121:122]
	v_fma_f64 v[48:49], v[48:49], s[10:11], v[14:15]
	v_fma_f64 v[46:47], v[46:47], s[6:7], -v[125:126]
	v_fma_f64 v[22:23], v[22:23], s[6:7], -v[157:158]
	v_fma_f64 v[125:126], v[155:156], s[14:15], -v[159:160]
	v_fma_f64 v[58:59], v[66:67], s[24:25], v[58:59]
	v_fma_f64 v[60:61], v[90:91], s[24:25], v[60:61]
	v_add_f64_e32 v[62:63], v[62:63], v[30:31]
	v_fma_f64 v[36:37], v[66:67], s[24:25], v[36:37]
	v_fma_f64 v[34:35], v[90:91], s[24:25], v[34:35]
	v_add_f64_e32 v[40:41], v[40:41], v[30:31]
	v_fma_f64 v[76:77], v[66:67], s[24:25], v[76:77]
	v_add_f64_e32 v[64:65], v[64:65], v[32:33]
	v_add_f64_e32 v[56:57], v[56:57], v[32:33]
	v_fma_f64 v[82:83], v[90:91], s[24:25], v[82:83]
	v_add_f64_e32 v[30:31], v[131:132], v[30:31]
	v_add_f64_e32 v[32:33], v[133:134], v[32:33]
	v_fma_f64 v[66:67], v[54:55], s[24:25], v[129:130]
	v_fma_f64 v[90:91], v[20:21], s[24:25], v[135:136]
	;; [unrolled: 1-line block ×5, first 2 shown]
	v_add_f64_e32 v[72:73], v[72:73], v[50:51]
	v_add_f64_e32 v[74:75], v[74:75], v[52:53]
	;; [unrolled: 1-line block ×4, first 2 shown]
	v_fma_f64 v[129:130], v[20:21], s[24:25], v[24:25]
	v_add_f64_e32 v[54:55], v[119:120], v[50:51]
	v_add_f64_e32 v[119:120], v[123:124], v[52:53]
	v_fma_f64 v[123:124], v[38:39], s[24:25], v[137:138]
	v_fma_f64 v[131:132], v[44:45], s[24:25], v[139:140]
	;; [unrolled: 1-line block ×4, first 2 shown]
	v_add_f64_e32 v[86:87], v[86:87], v[26:27]
	v_add_f64_e32 v[141:142], v[42:43], v[26:27]
	;; [unrolled: 1-line block ×5, first 2 shown]
	v_fma_f64 v[133:134], v[38:39], s[24:25], v[46:47]
	v_fma_f64 v[135:136], v[44:45], s[24:25], v[22:23]
	v_add_f64_e32 v[125:126], v[125:126], v[48:49]
	v_add_f64_e32 v[16:17], v[60:61], v[62:63]
	v_add_f64_e32 v[20:21], v[34:35], v[40:41]
	v_add_f64_e64 v[18:19], v[64:65], -v[58:59]
	v_add_f64_e64 v[22:23], v[56:57], -v[36:37]
	v_add_f64_e32 v[38:39], v[58:59], v[64:65]
	v_add_f64_e64 v[24:25], v[30:31], -v[82:83]
	v_add_f64_e32 v[26:27], v[76:77], v[32:33]
	v_add_f64_e32 v[28:29], v[82:83], v[30:31]
	v_add_f64_e64 v[30:31], v[32:33], -v[76:77]
	v_add_f64_e64 v[32:33], v[40:41], -v[34:35]
	v_add_f64_e32 v[34:35], v[36:37], v[56:57]
	v_add_f64_e64 v[36:37], v[62:63], -v[60:61]
	v_add_f64_e32 v[40:41], v[90:91], v[72:73]
	;; [unrolled: 2-line block ×3, first 2 shown]
	v_add_f64_e64 v[46:47], v[70:71], -v[78:79]
	v_add_f64_e64 v[56:57], v[68:69], -v[127:128]
	;; [unrolled: 1-line block ×3, first 2 shown]
	v_add_f64_e32 v[50:51], v[80:81], v[119:120]
	v_add_f64_e32 v[52:53], v[129:130], v[54:55]
	v_add_f64_e64 v[54:55], v[119:120], -v[80:81]
	v_add_f64_e32 v[58:59], v[78:79], v[70:71]
	v_add_f64_e64 v[60:61], v[72:73], -v[90:91]
	v_add_f64_e32 v[62:63], v[66:67], v[74:75]
	v_add_f64_e32 v[64:65], v[131:132], v[86:87]
	;; [unrolled: 1-line block ×3, first 2 shown]
	v_add_f64_e64 v[66:67], v[88:89], -v[123:124]
	v_add_f64_e64 v[70:71], v[84:85], -v[137:138]
	;; [unrolled: 1-line block ×4, first 2 shown]
	v_add_f64_e32 v[74:75], v[133:134], v[125:126]
	v_add_f64_e32 v[76:77], v[135:136], v[121:122]
	v_add_f64_e64 v[78:79], v[125:126], -v[133:134]
	v_add_f64_e32 v[82:83], v[137:138], v[84:85]
	v_add_f64_e64 v[84:85], v[86:87], -v[131:132]
	v_add_f64_e32 v[86:87], v[123:124], v[88:89]
	v_mul_u32_u24_e32 v89, 0xa80, v98
	v_mul_u32_u24_e32 v90, 0xa80, v107
	;; [unrolled: 1-line block ×3, first 2 shown]
	s_delay_alu instid0(VALU_DEP_3) | instskip(NEXT) | instid1(VALU_DEP_3)
	v_add3_u32 v8, 0, v89, v8
	v_add3_u32 v9, 0, v90, v9
	ds_store_b128 v8, v[0:3]
	ds_store_b128 v8, v[16:19] offset:384
	ds_store_b128 v8, v[20:23] offset:768
	ds_store_b128 v8, v[24:27] offset:1152
	ds_store_b128 v8, v[28:31] offset:1536
	ds_store_b128 v8, v[32:35] offset:1920
	ds_store_b128 v8, v[36:39] offset:2304
	ds_store_b128 v9, v[4:7]
	ds_store_b128 v9, v[40:43] offset:384
	ds_store_b128 v9, v[44:47] offset:768
	ds_store_b128 v9, v[48:51] offset:1152
	ds_store_b128 v9, v[52:55] offset:1536
	ds_store_b128 v9, v[56:59] offset:1920
	ds_store_b128 v9, v[60:63] offset:2304
	;; [unrolled: 7-line block ×3, first 2 shown]
	v_mul_i32_i24_e32 v24, 6, v97
	v_dual_mov_b32 v25, 0 :: v_dual_lshlrev_b32 v88, 4, v88
	global_wb scope:SCOPE_SE
	s_wait_dscnt 0x0
	s_barrier_signal -1
	s_barrier_wait -1
	v_lshlrev_b64_e32 v[16:17], 4, v[24:25]
	global_inv scope:SCOPE_SE
	s_clause 0x3
	global_load_b128 v[0:3], v88, s[4:5] offset:2656
	global_load_b128 v[12:15], v88, s[4:5] offset:2672
	global_load_b128 v[8:11], v88, s[4:5] offset:2720
	global_load_b128 v[4:7], v88, s[4:5] offset:2736
	v_mul_i32_i24_e32 v24, 6, v106
	v_add_co_u32 v62, s1, s4, v16
	s_wait_alu 0xf1ff
	v_add_co_ci_u32_e64 v63, s1, s5, v17, s1
	s_clause 0x2
	global_load_b128 v[20:23], v[62:63], off offset:2656
	global_load_b128 v[16:19], v[62:63], off offset:2672
	;; [unrolled: 1-line block ×3, first 2 shown]
	v_lshlrev_b64_e32 v[38:39], 4, v[24:25]
	s_clause 0x1
	global_load_b128 v[30:33], v88, s[4:5] offset:2688
	global_load_b128 v[34:37], v[62:63], off offset:2720
	v_add_co_u32 v70, s1, s4, v38
	s_wait_alu 0xf1ff
	v_add_co_ci_u32_e64 v71, s1, s5, v39, s1
	s_clause 0x8
	global_load_b128 v[38:41], v88, s[4:5] offset:2704
	global_load_b128 v[42:45], v[70:71], off offset:2656
	global_load_b128 v[46:49], v[70:71], off offset:2672
	;; [unrolled: 1-line block ×8, first 2 shown]
	ds_load_b128 v[74:77], v111
	ds_load_b128 v[78:81], v117
	ds_load_b128 v[82:85], v108 offset:13440
	ds_load_b128 v[86:89], v108 offset:16128
	;; [unrolled: 1-line block ×7, first 2 shown]
	ds_load_b128 v[139:142], v108
	ds_load_b128 v[143:146], v114
	ds_load_b128 v[147:150], v108 offset:4480
	ds_load_b128 v[151:154], v108 offset:10752
	;; [unrolled: 1-line block ×4, first 2 shown]
	s_wait_loadcnt_dscnt 0x110e
	v_mul_f64_e32 v[90:91], v[76:77], v[2:3]
	s_wait_loadcnt_dscnt 0xf0c
	v_mul_f64_e32 v[165:166], v[84:85], v[10:11]
	v_mul_f64_e32 v[167:168], v[82:83], v[10:11]
	s_wait_loadcnt_dscnt 0xe0b
	v_mul_f64_e32 v[169:170], v[88:89], v[6:7]
	v_mul_f64_e32 v[6:7], v[86:87], v[6:7]
	;; [unrolled: 1-line block ×5, first 2 shown]
	s_wait_loadcnt_dscnt 0xd0a
	v_mul_f64_e32 v[171:172], v[121:122], v[22:23]
	v_mul_f64_e32 v[22:23], v[119:120], v[22:23]
	s_wait_loadcnt_dscnt 0xc09
	v_mul_f64_e32 v[173:174], v[125:126], v[18:19]
	v_mul_f64_e32 v[18:19], v[123:124], v[18:19]
	;; [unrolled: 3-line block ×4, first 2 shown]
	v_fma_f64 v[90:91], v[74:75], v[0:1], -v[90:91]
	v_fma_f64 v[82:83], v[82:83], v[8:9], -v[165:166]
	v_fma_f64 v[8:9], v[84:85], v[8:9], v[167:168]
	s_wait_loadcnt 0x9
	v_mul_f64_e32 v[84:85], v[129:130], v[36:37]
	v_mul_f64_e32 v[36:37], v[127:128], v[36:37]
	s_wait_loadcnt_dscnt 0x802
	v_mul_f64_e32 v[165:166], v[153:154], v[40:41]
	v_fma_f64 v[86:87], v[86:87], v[4:5], -v[169:170]
	v_fma_f64 v[4:5], v[88:89], v[4:5], v[6:7]
	v_mul_f64_e32 v[6:7], v[151:152], v[40:41]
	s_wait_loadcnt 0x7
	v_mul_f64_e32 v[40:41], v[149:150], v[44:45]
	v_mul_f64_e32 v[44:45], v[147:148], v[44:45]
	s_wait_loadcnt_dscnt 0x601
	v_mul_f64_e32 v[88:89], v[157:158], v[48:49]
	v_fma_f64 v[119:120], v[119:120], v[20:21], -v[171:172]
	v_fma_f64 v[20:21], v[121:122], v[20:21], v[22:23]
	v_mul_f64_e32 v[22:23], v[155:156], v[48:49]
	s_wait_loadcnt 0x5
	v_mul_f64_e32 v[48:49], v[133:134], v[52:53]
	s_wait_loadcnt_dscnt 0x400
	v_mul_f64_e32 v[121:122], v[161:162], v[56:57]
	v_mul_f64_e32 v[56:57], v[159:160], v[56:57]
	v_fma_f64 v[123:124], v[123:124], v[16:17], -v[173:174]
	v_fma_f64 v[16:17], v[125:126], v[16:17], v[18:19]
	v_mul_f64_e32 v[18:19], v[131:132], v[52:53]
	v_fma_f64 v[177:178], v[76:77], v[0:1], v[2:3]
	ds_load_b128 v[0:3], v108 offset:8960
	ds_load_b128 v[74:77], v108 offset:9856
	v_fma_f64 v[163:164], v[78:79], v[12:13], -v[163:164]
	v_fma_f64 v[14:15], v[80:81], v[12:13], v[14:15]
	ds_load_b128 v[10:13], v108 offset:11648
	ds_load_b128 v[78:81], v108 offset:12544
	v_fma_f64 v[135:136], v[135:136], v[26:27], -v[175:176]
	v_fma_f64 v[26:27], v[137:138], v[26:27], v[28:29]
	s_wait_loadcnt_dscnt 0x303
	v_mul_f64_e32 v[52:53], v[2:3], v[60:61]
	v_mul_f64_e32 v[60:61], v[0:1], v[60:61]
	v_fma_f64 v[84:85], v[127:128], v[34:35], -v[84:85]
	s_wait_loadcnt_dscnt 0x201
	v_mul_f64_e32 v[28:29], v[10:11], v[64:65]
	v_mul_f64_e32 v[125:126], v[12:13], v[64:65]
	s_wait_loadcnt 0x1
	v_mul_f64_e32 v[64:65], v[76:77], v[68:69]
	v_mul_f64_e32 v[68:69], v[74:75], v[68:69]
	s_wait_loadcnt_dscnt 0x0
	v_mul_f64_e32 v[137:138], v[80:81], v[72:73]
	v_fma_f64 v[34:35], v[129:130], v[34:35], v[36:37]
	v_mul_f64_e32 v[36:37], v[78:79], v[72:73]
	v_fma_f64 v[72:73], v[143:144], v[30:31], -v[179:180]
	v_fma_f64 v[30:31], v[145:146], v[30:31], v[32:33]
	v_fma_f64 v[32:33], v[151:152], v[38:39], -v[165:166]
	v_fma_f64 v[6:7], v[153:154], v[38:39], v[6:7]
	;; [unrolled: 2-line block ×6, first 2 shown]
	v_add_f64_e32 v[54:55], v[177:178], v[4:5]
	v_add_f64_e32 v[56:57], v[163:164], v[82:83]
	v_fma_f64 v[50:51], v[0:1], v[58:59], -v[52:53]
	v_fma_f64 v[52:53], v[2:3], v[58:59], v[60:61]
	v_add_f64_e32 v[58:59], v[14:15], v[8:9]
	v_fma_f64 v[12:13], v[12:13], v[62:63], v[28:29]
	v_add_f64_e32 v[28:29], v[90:91], v[86:87]
	v_fma_f64 v[10:11], v[10:11], v[62:63], -v[125:126]
	v_fma_f64 v[60:61], v[74:75], v[66:67], -v[64:65]
	v_fma_f64 v[62:63], v[76:77], v[66:67], v[68:69]
	v_fma_f64 v[64:65], v[78:79], v[70:71], -v[137:138]
	v_fma_f64 v[36:37], v[80:81], v[70:71], v[36:37]
	v_add_f64_e32 v[66:67], v[119:120], v[135:136]
	v_add_f64_e32 v[68:69], v[20:21], v[26:27]
	;; [unrolled: 1-line block ×4, first 2 shown]
	v_add_f64_e64 v[76:77], v[163:164], -v[82:83]
	v_add_f64_e64 v[8:9], v[14:15], -v[8:9]
	v_add_f64_e32 v[14:15], v[72:73], v[32:33]
	v_add_f64_e64 v[32:33], v[32:33], -v[72:73]
	v_add_f64_e32 v[72:73], v[38:39], v[44:45]
	v_add_f64_e32 v[80:81], v[40:41], v[46:47]
	;; [unrolled: 1-line block ×5, first 2 shown]
	v_add_f64_e64 v[30:31], v[6:7], -v[30:31]
	v_add_f64_e64 v[84:85], v[123:124], -v[84:85]
	;; [unrolled: 1-line block ×10, first 2 shown]
	ds_load_b128 v[0:3], v113
	ds_load_b128 v[4:7], v112
	global_wb scope:SCOPE_SE
	s_wait_dscnt 0x0
	s_barrier_signal -1
	s_barrier_wait -1
	global_inv scope:SCOPE_SE
	v_add_f64_e32 v[123:124], v[58:59], v[54:55]
	v_add_f64_e32 v[125:126], v[52:53], v[12:13]
	;; [unrolled: 1-line block ×4, first 2 shown]
	v_add_f64_e64 v[10:11], v[10:11], -v[50:51]
	v_add_f64_e64 v[12:13], v[12:13], -v[52:53]
	;; [unrolled: 1-line block ×3, first 2 shown]
	v_add_f64_e32 v[22:23], v[60:61], v[64:65]
	v_add_f64_e32 v[42:43], v[62:63], v[36:37]
	v_add_f64_e64 v[48:49], v[64:65], -v[60:61]
	v_add_f64_e32 v[44:45], v[70:71], v[66:67]
	v_add_f64_e32 v[46:47], v[74:75], v[68:69]
	v_add_f64_e64 v[36:37], v[36:37], -v[62:63]
	v_add_f64_e64 v[52:53], v[56:57], -v[28:29]
	;; [unrolled: 1-line block ×6, first 2 shown]
	v_add_f64_e32 v[119:120], v[82:83], v[72:73]
	v_add_f64_e32 v[127:128], v[88:89], v[80:81]
	v_add_f64_e64 v[54:55], v[54:55], -v[78:79]
	v_add_f64_e64 v[58:59], v[78:79], -v[58:59]
	;; [unrolled: 1-line block ×3, first 2 shown]
	v_add_f64_e32 v[62:63], v[32:33], v[76:77]
	v_add_f64_e32 v[64:65], v[30:31], v[8:9]
	v_add_f64_e64 v[76:77], v[76:77], -v[86:87]
	v_add_f64_e64 v[133:134], v[8:9], -v[90:91]
	;; [unrolled: 1-line block ×9, first 2 shown]
	v_add_f64_e32 v[14:15], v[14:15], v[34:35]
	v_add_f64_e32 v[34:35], v[78:79], v[123:124]
	v_add_f64_e64 v[66:67], v[66:67], -v[121:122]
	v_add_f64_e64 v[143:144], v[10:11], -v[84:85]
	v_add_f64_e64 v[145:146], v[12:13], -v[16:17]
	v_add_f64_e32 v[78:79], v[10:11], v[84:85]
	v_add_f64_e32 v[123:124], v[12:13], v[16:17]
	v_add_f64_e64 v[84:85], v[84:85], -v[50:51]
	v_add_f64_e32 v[44:45], v[121:122], v[44:45]
	v_add_f64_e32 v[46:47], v[125:126], v[46:47]
	v_add_f64_e64 v[16:17], v[16:17], -v[20:21]
	v_add_f64_e64 v[70:71], v[121:122], -v[70:71]
	;; [unrolled: 1-line block ×3, first 2 shown]
	v_add_f64_e32 v[121:122], v[48:49], v[40:41]
	v_add_f64_e32 v[125:126], v[36:37], v[18:19]
	v_add_f64_e64 v[72:73], v[72:73], -v[22:23]
	v_add_f64_e64 v[80:81], v[80:81], -v[42:43]
	;; [unrolled: 1-line block ×6, first 2 shown]
	v_add_f64_e32 v[22:23], v[22:23], v[119:120]
	v_add_f64_e32 v[42:43], v[42:43], v[127:128]
	v_add_f64_e64 v[40:41], v[40:41], -v[26:27]
	v_add_f64_e64 v[18:19], v[18:19], -v[38:39]
	v_add_f64_e64 v[147:148], v[50:51], -v[10:11]
	v_mul_f64_e32 v[28:29], s[12:13], v[28:29]
	v_mul_f64_e32 v[54:55], s[12:13], v[54:55]
	;; [unrolled: 1-line block ×6, first 2 shown]
	v_add_f64_e32 v[62:63], v[62:63], v[86:87]
	v_add_f64_e32 v[64:65], v[64:65], v[90:91]
	v_mul_f64_e32 v[86:87], s[6:7], v[76:77]
	v_mul_f64_e32 v[90:91], s[6:7], v[133:134]
	v_add_f64_e64 v[12:13], v[20:21], -v[12:13]
	v_mul_f64_e32 v[68:69], s[12:13], v[68:69]
	v_add_f64_e32 v[8:9], v[139:140], v[14:15]
	v_add_f64_e32 v[10:11], v[141:142], v[34:35]
	v_mul_f64_e32 v[66:67], s[12:13], v[66:67]
	v_mul_f64_e32 v[143:144], s[18:19], v[143:144]
	v_mul_f64_e32 v[145:146], s[18:19], v[145:146]
	v_add_f64_e32 v[50:51], v[78:79], v[50:51]
	v_add_f64_e32 v[20:21], v[123:124], v[20:21]
	v_mul_f64_e32 v[78:79], s[6:7], v[84:85]
	v_add_f64_e32 v[0:1], v[0:1], v[44:45]
	v_add_f64_e32 v[2:3], v[2:3], v[46:47]
	v_mul_f64_e32 v[123:124], s[6:7], v[16:17]
	v_mul_f64_e32 v[139:140], s[2:3], v[70:71]
	;; [unrolled: 1-line block ×3, first 2 shown]
	v_add_f64_e64 v[48:49], v[26:27], -v[48:49]
	v_add_f64_e64 v[36:37], v[38:39], -v[36:37]
	v_add_f64_e32 v[26:27], v[121:122], v[26:27]
	v_add_f64_e32 v[38:39], v[125:126], v[38:39]
	v_mul_f64_e32 v[72:73], s[12:13], v[72:73]
	v_mul_f64_e32 v[80:81], s[12:13], v[80:81]
	;; [unrolled: 1-line block ×4, first 2 shown]
	v_add_f64_e32 v[4:5], v[4:5], v[22:23]
	v_add_f64_e32 v[6:7], v[6:7], v[42:43]
	v_mul_f64_e32 v[157:158], s[6:7], v[40:41]
	v_mul_f64_e32 v[159:160], s[6:7], v[18:19]
	;; [unrolled: 1-line block ×4, first 2 shown]
	v_fma_f64 v[56:57], v[56:57], s[2:3], v[28:29]
	v_fma_f64 v[58:59], v[58:59], s[2:3], v[54:55]
	v_fma_f64 v[119:120], v[52:53], s[14:15], -v[119:120]
	v_fma_f64 v[127:128], v[60:61], s[14:15], -v[127:128]
	v_fma_f64 v[28:29], v[52:53], s[16:17], -v[28:29]
	v_fma_f64 v[52:53], v[60:61], s[16:17], -v[54:55]
	v_fma_f64 v[54:55], v[32:33], s[20:21], v[129:130]
	v_fma_f64 v[60:61], v[30:31], s[20:21], v[131:132]
	v_fma_f64 v[76:77], v[76:77], s[6:7], -v[129:130]
	v_fma_f64 v[32:33], v[32:33], s[22:23], -v[86:87]
	;; [unrolled: 1-line block ×3, first 2 shown]
	v_fma_f64 v[14:15], v[14:15], s[10:11], v[8:9]
	v_fma_f64 v[34:35], v[34:35], s[10:11], v[10:11]
	v_fma_f64 v[129:130], v[133:134], s[6:7], -v[131:132]
	v_fma_f64 v[70:71], v[70:71], s[2:3], v[66:67]
	v_fma_f64 v[74:75], v[74:75], s[2:3], v[68:69]
	v_fma_f64 v[131:132], v[147:148], s[20:21], v[143:144]
	v_fma_f64 v[133:134], v[12:13], s[20:21], v[145:146]
	v_fma_f64 v[78:79], v[147:148], s[22:23], -v[78:79]
	v_fma_f64 v[44:45], v[44:45], s[10:11], v[0:1]
	v_fma_f64 v[46:47], v[46:47], s[10:11], v[2:3]
	v_fma_f64 v[12:13], v[12:13], s[22:23], -v[123:124]
	v_fma_f64 v[66:67], v[135:136], s[16:17], -v[66:67]
	;; [unrolled: 1-line block ×7, first 2 shown]
	v_fma_f64 v[82:83], v[82:83], s[2:3], v[72:73]
	v_fma_f64 v[88:89], v[88:89], s[2:3], v[80:81]
	;; [unrolled: 1-line block ×6, first 2 shown]
	v_fma_f64 v[48:49], v[48:49], s[22:23], -v[157:158]
	v_fma_f64 v[36:37], v[36:37], s[22:23], -v[159:160]
	v_fma_f64 v[72:73], v[149:150], s[16:17], -v[72:73]
	v_fma_f64 v[80:81], v[151:152], s[16:17], -v[80:81]
	v_fma_f64 v[40:41], v[40:41], s[6:7], -v[121:122]
	v_fma_f64 v[18:19], v[18:19], s[6:7], -v[125:126]
	v_fma_f64 v[121:122], v[149:150], s[14:15], -v[153:154]
	v_fma_f64 v[125:126], v[151:152], s[14:15], -v[155:156]
	s_mov_b32 s2, exec_lo
	v_fma_f64 v[54:55], v[62:63], s[24:25], v[54:55]
	v_fma_f64 v[60:61], v[64:65], s[24:25], v[60:61]
	;; [unrolled: 1-line block ×5, first 2 shown]
	v_add_f64_e32 v[56:57], v[56:57], v[14:15]
	v_add_f64_e32 v[58:59], v[58:59], v[34:35]
	;; [unrolled: 1-line block ×4, first 2 shown]
	v_fma_f64 v[129:130], v[64:65], s[24:25], v[129:130]
	v_add_f64_e32 v[28:29], v[119:120], v[14:15]
	v_add_f64_e32 v[34:35], v[127:128], v[34:35]
	v_fma_f64 v[64:65], v[50:51], s[24:25], v[131:132]
	v_fma_f64 v[119:120], v[20:21], s[24:25], v[133:134]
	v_add_f64_e32 v[70:71], v[70:71], v[44:45]
	v_add_f64_e32 v[74:75], v[74:75], v[46:47]
	v_fma_f64 v[78:79], v[50:51], s[24:25], v[78:79]
	;; [unrolled: 4-line block ×6, first 2 shown]
	v_fma_f64 v[135:136], v[38:39], s[24:25], v[18:19]
	v_add_f64_e32 v[121:122], v[121:122], v[22:23]
	v_add_f64_e32 v[125:126], v[125:126], v[42:43]
	;; [unrolled: 1-line block ×3, first 2 shown]
	v_add_f64_e64 v[14:15], v[58:59], -v[54:55]
	v_add_f64_e32 v[16:17], v[30:31], v[62:63]
	v_add_f64_e64 v[18:19], v[52:53], -v[32:33]
	v_add_f64_e64 v[30:31], v[62:63], -v[30:31]
	;; [unrolled: 1-line block ×3, first 2 shown]
	v_add_f64_e32 v[22:23], v[76:77], v[34:35]
	v_add_f64_e32 v[26:27], v[129:130], v[28:29]
	v_add_f64_e64 v[28:29], v[34:35], -v[76:77]
	v_add_f64_e32 v[32:33], v[32:33], v[52:53]
	v_add_f64_e64 v[34:35], v[56:57], -v[60:61]
	v_add_f64_e32 v[36:37], v[54:55], v[58:59]
	v_add_f64_e32 v[38:39], v[119:120], v[70:71]
	v_add_f64_e64 v[40:41], v[74:75], -v[64:65]
	v_add_f64_e32 v[42:43], v[131:132], v[66:67]
	v_add_f64_e64 v[44:45], v[68:69], -v[78:79]
	v_add_f64_e64 v[54:55], v[66:67], -v[131:132]
	;; [unrolled: 1-line block ×3, first 2 shown]
	v_add_f64_e32 v[48:49], v[84:85], v[86:87]
	v_add_f64_e32 v[50:51], v[127:128], v[50:51]
	v_add_f64_e64 v[52:53], v[86:87], -v[84:85]
	v_add_f64_e32 v[56:57], v[78:79], v[68:69]
	v_add_f64_e64 v[58:59], v[70:71], -v[119:120]
	v_add_f64_e32 v[60:61], v[64:65], v[74:75]
	v_add_f64_e32 v[62:63], v[123:124], v[82:83]
	v_add_f64_e64 v[64:65], v[88:89], -v[90:91]
	v_add_f64_e32 v[66:67], v[139:140], v[141:142]
	v_add_f64_e64 v[68:69], v[80:81], -v[137:138]
	v_add_f64_e64 v[78:79], v[141:142], -v[139:140]
	;; [unrolled: 1-line block ×3, first 2 shown]
	v_add_f64_e32 v[72:73], v[133:134], v[125:126]
	v_add_f64_e32 v[74:75], v[135:136], v[121:122]
	v_add_f64_e64 v[76:77], v[125:126], -v[133:134]
	v_add_f64_e32 v[80:81], v[137:138], v[80:81]
	v_add_f64_e64 v[82:83], v[82:83], -v[123:124]
	v_add_f64_e32 v[84:85], v[90:91], v[88:89]
	ds_store_b128 v108, v[8:11]
	ds_store_b128 v108, v[12:15] offset:2688
	ds_store_b128 v108, v[16:19] offset:5376
	ds_store_b128 v108, v[20:23] offset:8064
	ds_store_b128 v108, v[26:29] offset:10752
	ds_store_b128 v108, v[30:33] offset:13440
	ds_store_b128 v108, v[34:37] offset:16128
	ds_store_b128 v113, v[0:3]
	ds_store_b128 v113, v[38:41] offset:2688
	ds_store_b128 v113, v[42:45] offset:5376
	ds_store_b128 v113, v[46:49] offset:8064
	ds_store_b128 v113, v[50:53] offset:10752
	ds_store_b128 v113, v[54:57] offset:13440
	ds_store_b128 v113, v[58:61] offset:16128
	;; [unrolled: 7-line block ×3, first 2 shown]
	global_wb scope:SCOPE_SE
	s_wait_dscnt 0x0
	s_barrier_signal -1
	s_barrier_wait -1
	global_inv scope:SCOPE_SE
	ds_load_b128 v[4:7], v108
	v_sub_nc_u32_e32 v10, 0, v93
                                        ; implicit-def: $vgpr2_vgpr3
                                        ; implicit-def: $vgpr8_vgpr9
	v_cmpx_ne_u32_e32 0, v92
	s_wait_alu 0xfffe
	s_xor_b32 s2, exec_lo, s2
	s_cbranch_execz .LBB0_25
; %bb.24:
	v_mov_b32_e32 v93, v25
	s_delay_alu instid0(VALU_DEP_1) | instskip(NEXT) | instid1(VALU_DEP_1)
	v_lshlrev_b64_e32 v[0:1], 4, v[92:93]
	v_add_co_u32 v0, s1, s4, v0
	s_wait_alu 0xf1ff
	s_delay_alu instid0(VALU_DEP_2)
	v_add_co_ci_u32_e64 v1, s1, s5, v1, s1
	global_load_b128 v[11:14], v[0:1], off offset:18784
	ds_load_b128 v[0:3], v10 offset:18816
	s_wait_dscnt 0x0
	v_add_f64_e64 v[8:9], v[4:5], -v[0:1]
	v_add_f64_e32 v[15:16], v[6:7], v[2:3]
	v_add_f64_e64 v[2:3], v[6:7], -v[2:3]
	v_add_f64_e32 v[0:1], v[4:5], v[0:1]
	s_delay_alu instid0(VALU_DEP_4) | instskip(NEXT) | instid1(VALU_DEP_4)
	v_mul_f64_e32 v[6:7], 0.5, v[8:9]
	v_mul_f64_e32 v[4:5], 0.5, v[15:16]
	s_delay_alu instid0(VALU_DEP_4) | instskip(SKIP_1) | instid1(VALU_DEP_3)
	v_mul_f64_e32 v[2:3], 0.5, v[2:3]
	s_wait_loadcnt 0x0
	v_mul_f64_e32 v[8:9], v[6:7], v[13:14]
	s_delay_alu instid0(VALU_DEP_2) | instskip(SKIP_1) | instid1(VALU_DEP_3)
	v_fma_f64 v[15:16], v[4:5], v[13:14], v[2:3]
	v_fma_f64 v[2:3], v[4:5], v[13:14], -v[2:3]
	v_fma_f64 v[17:18], v[0:1], 0.5, v[8:9]
	v_fma_f64 v[0:1], v[0:1], 0.5, -v[8:9]
	s_delay_alu instid0(VALU_DEP_4) | instskip(NEXT) | instid1(VALU_DEP_4)
	v_fma_f64 v[8:9], -v[11:12], v[6:7], v[15:16]
	v_fma_f64 v[2:3], -v[11:12], v[6:7], v[2:3]
	s_delay_alu instid0(VALU_DEP_4) | instskip(NEXT) | instid1(VALU_DEP_4)
	v_fma_f64 v[13:14], v[4:5], v[11:12], v[17:18]
	v_fma_f64 v[0:1], -v[4:5], v[11:12], v[0:1]
                                        ; implicit-def: $vgpr4_vgpr5
	ds_store_b64 v108, v[13:14]
.LBB0_25:
	s_wait_alu 0xfffe
	s_and_not1_saveexec_b32 s1, s2
	s_cbranch_execz .LBB0_27
; %bb.26:
	s_wait_dscnt 0x0
	v_add_f64_e32 v[11:12], v[4:5], v[6:7]
	v_add_f64_e64 v[0:1], v[4:5], -v[6:7]
	v_mov_b32_e32 v6, 0
	v_mov_b32_e32 v8, 0
	;; [unrolled: 1-line block ×3, first 2 shown]
	s_delay_alu instid0(VALU_DEP_2)
	v_mov_b32_e32 v2, v8
	ds_load_b64 v[4:5], v6 offset:9416
	v_mov_b32_e32 v3, v9
	s_wait_dscnt 0x0
	v_xor_b32_e32 v5, 0x80000000, v5
	ds_store_b64 v108, v[11:12]
	ds_store_b64 v6, v[4:5] offset:9416
.LBB0_27:
	s_wait_alu 0xfffe
	s_or_b32 exec_lo, exec_lo, s1
	v_mov_b32_e32 v98, 0
	s_wait_dscnt 0x0
	s_delay_alu instid0(VALU_DEP_1) | instskip(SKIP_1) | instid1(VALU_DEP_1)
	v_lshlrev_b64_e32 v[4:5], 4, v[97:98]
	v_mov_b32_e32 v107, v98
	v_lshlrev_b64_e32 v[11:12], 4, v[106:107]
	v_mov_b32_e32 v106, v98
	s_delay_alu instid0(VALU_DEP_4) | instskip(SKIP_2) | instid1(VALU_DEP_4)
	v_add_co_u32 v4, s1, s4, v4
	s_wait_alu 0xf1ff
	v_add_co_ci_u32_e64 v5, s1, s5, v5, s1
	v_add_co_u32 v11, s1, s4, v11
	s_wait_alu 0xf1ff
	v_add_co_ci_u32_e64 v12, s1, s5, v12, s1
	s_clause 0x1
	global_load_b128 v[4:7], v[4:5], off offset:18784
	global_load_b128 v[11:14], v[11:12], off offset:18784
	ds_store_b64 v108, v[8:9] offset:8
	ds_store_b128 v10, v[0:3] offset:18816
	ds_load_b128 v[0:3], v113
	ds_load_b128 v[15:18], v10 offset:17920
	s_wait_dscnt 0x0
	v_add_f64_e64 v[8:9], v[0:1], -v[15:16]
	v_add_f64_e32 v[19:20], v[2:3], v[17:18]
	v_add_f64_e64 v[2:3], v[2:3], -v[17:18]
	v_add_f64_e32 v[0:1], v[0:1], v[15:16]
	s_delay_alu instid0(VALU_DEP_4) | instskip(NEXT) | instid1(VALU_DEP_4)
	v_mul_f64_e32 v[8:9], 0.5, v[8:9]
	v_mul_f64_e32 v[17:18], 0.5, v[19:20]
	s_delay_alu instid0(VALU_DEP_4) | instskip(SKIP_1) | instid1(VALU_DEP_3)
	v_mul_f64_e32 v[2:3], 0.5, v[2:3]
	s_wait_loadcnt 0x1
	v_mul_f64_e32 v[15:16], v[8:9], v[6:7]
	s_delay_alu instid0(VALU_DEP_2) | instskip(SKIP_1) | instid1(VALU_DEP_3)
	v_fma_f64 v[19:20], v[17:18], v[6:7], v[2:3]
	v_fma_f64 v[6:7], v[17:18], v[6:7], -v[2:3]
	v_fma_f64 v[21:22], v[0:1], 0.5, v[15:16]
	v_fma_f64 v[15:16], v[0:1], 0.5, -v[15:16]
	s_delay_alu instid0(VALU_DEP_4) | instskip(NEXT) | instid1(VALU_DEP_4)
	v_fma_f64 v[2:3], -v[4:5], v[8:9], v[19:20]
	v_fma_f64 v[6:7], -v[4:5], v[8:9], v[6:7]
	v_lshlrev_b64_e32 v[8:9], 4, v[105:106]
	v_mov_b32_e32 v105, v98
	s_delay_alu instid0(VALU_DEP_2) | instskip(SKIP_1) | instid1(VALU_DEP_3)
	v_add_co_u32 v8, s1, s4, v8
	s_wait_alu 0xf1ff
	v_add_co_ci_u32_e64 v9, s1, s5, v9, s1
	v_fma_f64 v[0:1], v[17:18], v[4:5], v[21:22]
	v_fma_f64 v[4:5], -v[17:18], v[4:5], v[15:16]
	global_load_b128 v[15:18], v[8:9], off offset:18784
	ds_store_b128 v113, v[0:3]
	ds_store_b128 v10, v[4:7] offset:17920
	ds_load_b128 v[0:3], v112
	ds_load_b128 v[4:7], v10 offset:17024
	s_wait_dscnt 0x0
	v_add_f64_e64 v[8:9], v[0:1], -v[4:5]
	v_add_f64_e32 v[19:20], v[2:3], v[6:7]
	v_add_f64_e64 v[2:3], v[2:3], -v[6:7]
	v_add_f64_e32 v[0:1], v[0:1], v[4:5]
	s_delay_alu instid0(VALU_DEP_4) | instskip(NEXT) | instid1(VALU_DEP_4)
	v_mul_f64_e32 v[6:7], 0.5, v[8:9]
	v_mul_f64_e32 v[8:9], 0.5, v[19:20]
	s_delay_alu instid0(VALU_DEP_4) | instskip(SKIP_1) | instid1(VALU_DEP_3)
	v_mul_f64_e32 v[2:3], 0.5, v[2:3]
	s_wait_loadcnt 0x1
	v_mul_f64_e32 v[4:5], v[6:7], v[13:14]
	s_delay_alu instid0(VALU_DEP_2) | instskip(SKIP_1) | instid1(VALU_DEP_3)
	v_fma_f64 v[19:20], v[8:9], v[13:14], v[2:3]
	v_fma_f64 v[13:14], v[8:9], v[13:14], -v[2:3]
	v_fma_f64 v[21:22], v[0:1], 0.5, v[4:5]
	v_fma_f64 v[4:5], v[0:1], 0.5, -v[4:5]
	s_delay_alu instid0(VALU_DEP_4) | instskip(NEXT) | instid1(VALU_DEP_4)
	v_fma_f64 v[2:3], -v[11:12], v[6:7], v[19:20]
	v_fma_f64 v[6:7], -v[11:12], v[6:7], v[13:14]
	s_delay_alu instid0(VALU_DEP_4) | instskip(NEXT) | instid1(VALU_DEP_4)
	v_fma_f64 v[0:1], v[8:9], v[11:12], v[21:22]
	v_fma_f64 v[4:5], -v[8:9], v[11:12], v[4:5]
	v_lshlrev_b64_e32 v[8:9], 4, v[104:105]
	v_mov_b32_e32 v104, v98
	s_delay_alu instid0(VALU_DEP_2) | instskip(SKIP_1) | instid1(VALU_DEP_3)
	v_add_co_u32 v8, s1, s4, v8
	s_wait_alu 0xf1ff
	v_add_co_ci_u32_e64 v9, s1, s5, v9, s1
	global_load_b128 v[11:14], v[8:9], off offset:18784
	ds_store_b128 v112, v[0:3]
	ds_store_b128 v10, v[4:7] offset:17024
	ds_load_b128 v[0:3], v111
	ds_load_b128 v[4:7], v10 offset:16128
	s_wait_dscnt 0x0
	v_add_f64_e64 v[8:9], v[0:1], -v[4:5]
	v_add_f64_e32 v[19:20], v[2:3], v[6:7]
	v_add_f64_e64 v[2:3], v[2:3], -v[6:7]
	v_add_f64_e32 v[0:1], v[0:1], v[4:5]
	s_delay_alu instid0(VALU_DEP_4) | instskip(NEXT) | instid1(VALU_DEP_4)
	v_mul_f64_e32 v[6:7], 0.5, v[8:9]
	v_mul_f64_e32 v[8:9], 0.5, v[19:20]
	s_delay_alu instid0(VALU_DEP_4) | instskip(SKIP_1) | instid1(VALU_DEP_3)
	v_mul_f64_e32 v[2:3], 0.5, v[2:3]
	s_wait_loadcnt 0x1
	v_mul_f64_e32 v[4:5], v[6:7], v[17:18]
	s_delay_alu instid0(VALU_DEP_2) | instskip(SKIP_1) | instid1(VALU_DEP_3)
	v_fma_f64 v[19:20], v[8:9], v[17:18], v[2:3]
	v_fma_f64 v[17:18], v[8:9], v[17:18], -v[2:3]
	v_fma_f64 v[21:22], v[0:1], 0.5, v[4:5]
	v_fma_f64 v[4:5], v[0:1], 0.5, -v[4:5]
	s_delay_alu instid0(VALU_DEP_4) | instskip(NEXT) | instid1(VALU_DEP_4)
	v_fma_f64 v[2:3], -v[15:16], v[6:7], v[19:20]
	v_fma_f64 v[6:7], -v[15:16], v[6:7], v[17:18]
	s_delay_alu instid0(VALU_DEP_4) | instskip(NEXT) | instid1(VALU_DEP_4)
	v_fma_f64 v[0:1], v[8:9], v[15:16], v[21:22]
	v_fma_f64 v[4:5], -v[8:9], v[15:16], v[4:5]
	v_lshlrev_b64_e32 v[8:9], 4, v[103:104]
	v_mov_b32_e32 v103, v98
	s_delay_alu instid0(VALU_DEP_2) | instskip(SKIP_1) | instid1(VALU_DEP_3)
	v_add_co_u32 v8, s1, s4, v8
	s_wait_alu 0xf1ff
	v_add_co_ci_u32_e64 v9, s1, s5, v9, s1
	;; [unrolled: 34-line block ×5, first 2 shown]
	global_load_b128 v[11:14], v[8:9], off offset:18784
	ds_store_b128 v117, v[0:3]
	ds_store_b128 v10, v[4:7] offset:13440
	ds_load_b128 v[0:3], v116
	ds_load_b128 v[4:7], v10 offset:12544
	s_wait_dscnt 0x0
	v_add_f64_e64 v[8:9], v[0:1], -v[4:5]
	v_add_f64_e32 v[19:20], v[2:3], v[6:7]
	v_add_f64_e64 v[2:3], v[2:3], -v[6:7]
	v_add_f64_e32 v[0:1], v[0:1], v[4:5]
	s_delay_alu instid0(VALU_DEP_4) | instskip(NEXT) | instid1(VALU_DEP_4)
	v_mul_f64_e32 v[6:7], 0.5, v[8:9]
	v_mul_f64_e32 v[8:9], 0.5, v[19:20]
	s_delay_alu instid0(VALU_DEP_4) | instskip(SKIP_1) | instid1(VALU_DEP_3)
	v_mul_f64_e32 v[2:3], 0.5, v[2:3]
	s_wait_loadcnt 0x1
	v_mul_f64_e32 v[4:5], v[6:7], v[17:18]
	s_delay_alu instid0(VALU_DEP_2) | instskip(SKIP_1) | instid1(VALU_DEP_3)
	v_fma_f64 v[19:20], v[8:9], v[17:18], v[2:3]
	v_fma_f64 v[17:18], v[8:9], v[17:18], -v[2:3]
	v_fma_f64 v[21:22], v[0:1], 0.5, v[4:5]
	v_fma_f64 v[4:5], v[0:1], 0.5, -v[4:5]
	s_delay_alu instid0(VALU_DEP_4) | instskip(NEXT) | instid1(VALU_DEP_4)
	v_fma_f64 v[2:3], -v[15:16], v[6:7], v[19:20]
	v_fma_f64 v[6:7], -v[15:16], v[6:7], v[17:18]
	s_delay_alu instid0(VALU_DEP_4) | instskip(NEXT) | instid1(VALU_DEP_4)
	v_fma_f64 v[0:1], v[8:9], v[15:16], v[21:22]
	v_fma_f64 v[4:5], -v[8:9], v[15:16], v[4:5]
	v_lshlrev_b64_e32 v[8:9], 4, v[99:100]
	s_delay_alu instid0(VALU_DEP_1) | instskip(SKIP_1) | instid1(VALU_DEP_2)
	v_add_co_u32 v8, s1, s4, v8
	s_wait_alu 0xf1ff
	v_add_co_ci_u32_e64 v9, s1, s5, v9, s1
	global_load_b128 v[15:18], v[8:9], off offset:18784
	ds_store_b128 v116, v[0:3]
	ds_store_b128 v10, v[4:7] offset:12544
	ds_load_b128 v[0:3], v115
	ds_load_b128 v[4:7], v10 offset:11648
	s_wait_dscnt 0x0
	v_add_f64_e64 v[8:9], v[0:1], -v[4:5]
	v_add_f64_e32 v[19:20], v[2:3], v[6:7]
	v_add_f64_e64 v[2:3], v[2:3], -v[6:7]
	v_add_f64_e32 v[0:1], v[0:1], v[4:5]
	s_delay_alu instid0(VALU_DEP_4) | instskip(NEXT) | instid1(VALU_DEP_4)
	v_mul_f64_e32 v[6:7], 0.5, v[8:9]
	v_mul_f64_e32 v[8:9], 0.5, v[19:20]
	s_delay_alu instid0(VALU_DEP_4) | instskip(SKIP_1) | instid1(VALU_DEP_3)
	v_mul_f64_e32 v[2:3], 0.5, v[2:3]
	s_wait_loadcnt 0x1
	v_mul_f64_e32 v[4:5], v[6:7], v[13:14]
	s_delay_alu instid0(VALU_DEP_2) | instskip(SKIP_1) | instid1(VALU_DEP_3)
	v_fma_f64 v[19:20], v[8:9], v[13:14], v[2:3]
	v_fma_f64 v[13:14], v[8:9], v[13:14], -v[2:3]
	v_fma_f64 v[21:22], v[0:1], 0.5, v[4:5]
	v_fma_f64 v[4:5], v[0:1], 0.5, -v[4:5]
	s_delay_alu instid0(VALU_DEP_4) | instskip(NEXT) | instid1(VALU_DEP_4)
	v_fma_f64 v[2:3], -v[11:12], v[6:7], v[19:20]
	v_fma_f64 v[6:7], -v[11:12], v[6:7], v[13:14]
	s_delay_alu instid0(VALU_DEP_4) | instskip(NEXT) | instid1(VALU_DEP_4)
	v_fma_f64 v[0:1], v[8:9], v[11:12], v[21:22]
	v_fma_f64 v[4:5], -v[8:9], v[11:12], v[4:5]
	ds_store_b128 v115, v[0:3]
	ds_store_b128 v10, v[4:7] offset:11648
	ds_load_b128 v[0:3], v114
	ds_load_b128 v[4:7], v10 offset:10752
	s_wait_dscnt 0x0
	v_add_f64_e64 v[8:9], v[0:1], -v[4:5]
	v_add_f64_e32 v[11:12], v[2:3], v[6:7]
	v_add_f64_e64 v[2:3], v[2:3], -v[6:7]
	v_add_f64_e32 v[0:1], v[0:1], v[4:5]
	s_delay_alu instid0(VALU_DEP_4) | instskip(NEXT) | instid1(VALU_DEP_4)
	v_mul_f64_e32 v[6:7], 0.5, v[8:9]
	v_mul_f64_e32 v[8:9], 0.5, v[11:12]
	s_delay_alu instid0(VALU_DEP_4) | instskip(SKIP_1) | instid1(VALU_DEP_3)
	v_mul_f64_e32 v[2:3], 0.5, v[2:3]
	s_wait_loadcnt 0x0
	v_mul_f64_e32 v[4:5], v[6:7], v[17:18]
	s_delay_alu instid0(VALU_DEP_2) | instskip(SKIP_1) | instid1(VALU_DEP_3)
	v_fma_f64 v[11:12], v[8:9], v[17:18], v[2:3]
	v_fma_f64 v[13:14], v[8:9], v[17:18], -v[2:3]
	v_fma_f64 v[17:18], v[0:1], 0.5, v[4:5]
	v_fma_f64 v[4:5], v[0:1], 0.5, -v[4:5]
	s_delay_alu instid0(VALU_DEP_4) | instskip(NEXT) | instid1(VALU_DEP_4)
	v_fma_f64 v[2:3], -v[15:16], v[6:7], v[11:12]
	v_fma_f64 v[6:7], -v[15:16], v[6:7], v[13:14]
	s_delay_alu instid0(VALU_DEP_4) | instskip(NEXT) | instid1(VALU_DEP_4)
	v_fma_f64 v[0:1], v[8:9], v[15:16], v[17:18]
	v_fma_f64 v[4:5], -v[8:9], v[15:16], v[4:5]
	ds_store_b128 v114, v[0:3]
	ds_store_b128 v10, v[4:7] offset:10752
	s_and_saveexec_b32 s1, s0
	s_cbranch_execz .LBB0_29
; %bb.28:
	v_mov_b32_e32 v97, v98
	s_delay_alu instid0(VALU_DEP_1) | instskip(NEXT) | instid1(VALU_DEP_1)
	v_lshlrev_b64_e32 v[0:1], 4, v[96:97]
	v_add_co_u32 v0, s0, s4, v0
	s_wait_alu 0xf1ff
	s_delay_alu instid0(VALU_DEP_2)
	v_add_co_ci_u32_e64 v1, s0, s5, v1, s0
	global_load_b128 v[0:3], v[0:1], off offset:18784
	ds_load_b128 v[4:7], v109
	ds_load_b128 v[11:14], v10 offset:9856
	s_wait_dscnt 0x0
	v_add_f64_e64 v[8:9], v[4:5], -v[11:12]
	v_add_f64_e32 v[15:16], v[6:7], v[13:14]
	v_add_f64_e64 v[6:7], v[6:7], -v[13:14]
	v_add_f64_e32 v[4:5], v[4:5], v[11:12]
	s_delay_alu instid0(VALU_DEP_4) | instskip(NEXT) | instid1(VALU_DEP_4)
	v_mul_f64_e32 v[8:9], 0.5, v[8:9]
	v_mul_f64_e32 v[13:14], 0.5, v[15:16]
	s_delay_alu instid0(VALU_DEP_4) | instskip(SKIP_1) | instid1(VALU_DEP_3)
	v_mul_f64_e32 v[6:7], 0.5, v[6:7]
	s_wait_loadcnt 0x0
	v_mul_f64_e32 v[11:12], v[8:9], v[2:3]
	s_delay_alu instid0(VALU_DEP_2) | instskip(SKIP_1) | instid1(VALU_DEP_3)
	v_fma_f64 v[15:16], v[13:14], v[2:3], v[6:7]
	v_fma_f64 v[2:3], v[13:14], v[2:3], -v[6:7]
	v_fma_f64 v[6:7], v[4:5], 0.5, v[11:12]
	v_fma_f64 v[11:12], v[4:5], 0.5, -v[11:12]
	s_delay_alu instid0(VALU_DEP_4) | instskip(NEXT) | instid1(VALU_DEP_4)
	v_fma_f64 v[4:5], -v[0:1], v[8:9], v[15:16]
	v_fma_f64 v[8:9], -v[0:1], v[8:9], v[2:3]
	s_delay_alu instid0(VALU_DEP_4) | instskip(NEXT) | instid1(VALU_DEP_4)
	v_fma_f64 v[2:3], v[13:14], v[0:1], v[6:7]
	v_fma_f64 v[6:7], -v[13:14], v[0:1], v[11:12]
	ds_store_b128 v109, v[2:5]
	ds_store_b128 v10, v[6:9] offset:9856
.LBB0_29:
	s_wait_alu 0xfffe
	s_or_b32 exec_lo, exec_lo, s1
	global_wb scope:SCOPE_SE
	s_wait_dscnt 0x0
	s_barrier_signal -1
	s_barrier_wait -1
	global_inv scope:SCOPE_SE
	s_and_saveexec_b32 s0, vcc_lo
	s_cbranch_execz .LBB0_32
; %bb.30:
	ds_load_b128 v[2:5], v108
	ds_load_b128 v[6:9], v108 offset:896
	v_mov_b32_e32 v93, 0
	v_add_co_u32 v0, vcc_lo, s8, v94
	s_wait_alu 0xfffd
	v_add_co_ci_u32_e32 v1, vcc_lo, s9, v95, vcc_lo
	s_delay_alu instid0(VALU_DEP_3) | instskip(NEXT) | instid1(VALU_DEP_1)
	v_lshlrev_b64_e32 v[10:11], 4, v[92:93]
	v_add_co_u32 v78, vcc_lo, v0, v10
	s_wait_alu 0xfffd
	s_delay_alu instid0(VALU_DEP_2)
	v_add_co_ci_u32_e32 v79, vcc_lo, v1, v11, vcc_lo
	ds_load_b128 v[10:13], v108 offset:1792
	ds_load_b128 v[14:17], v108 offset:2688
	;; [unrolled: 1-line block ×14, first 2 shown]
	v_cmp_eq_u32_e32 vcc_lo, 55, v92
	s_wait_dscnt 0xf
	global_store_b128 v[78:79], v[2:5], off
	s_wait_dscnt 0xe
	global_store_b128 v[78:79], v[6:9], off offset:896
	ds_load_b128 v[2:5], v108 offset:14336
	ds_load_b128 v[6:9], v108 offset:15232
	;; [unrolled: 1-line block ×5, first 2 shown]
	s_wait_dscnt 0x12
	global_store_b128 v[78:79], v[10:13], off offset:1792
	s_wait_dscnt 0x11
	global_store_b128 v[78:79], v[14:17], off offset:2688
	;; [unrolled: 2-line block ×19, first 2 shown]
	s_and_b32 exec_lo, exec_lo, vcc_lo
	s_cbranch_execz .LBB0_32
; %bb.31:
	ds_load_b128 v[2:5], v93 offset:18816
	s_wait_dscnt 0x0
	global_store_b128 v[0:1], v[2:5], off offset:18816
.LBB0_32:
	s_nop 0
	s_sendmsg sendmsg(MSG_DEALLOC_VGPRS)
	s_endpgm
	.section	.rodata,"a",@progbits
	.p2align	6, 0x0
	.amdhsa_kernel fft_rtc_fwd_len1176_factors_2_2_2_3_7_7_wgs_56_tpt_56_halfLds_dp_ip_CI_unitstride_sbrr_R2C_dirReg
		.amdhsa_group_segment_fixed_size 0
		.amdhsa_private_segment_fixed_size 0
		.amdhsa_kernarg_size 88
		.amdhsa_user_sgpr_count 2
		.amdhsa_user_sgpr_dispatch_ptr 0
		.amdhsa_user_sgpr_queue_ptr 0
		.amdhsa_user_sgpr_kernarg_segment_ptr 1
		.amdhsa_user_sgpr_dispatch_id 0
		.amdhsa_user_sgpr_private_segment_size 0
		.amdhsa_wavefront_size32 1
		.amdhsa_uses_dynamic_stack 0
		.amdhsa_enable_private_segment 0
		.amdhsa_system_sgpr_workgroup_id_x 1
		.amdhsa_system_sgpr_workgroup_id_y 0
		.amdhsa_system_sgpr_workgroup_id_z 0
		.amdhsa_system_sgpr_workgroup_info 0
		.amdhsa_system_vgpr_workitem_id 0
		.amdhsa_next_free_vgpr 186
		.amdhsa_next_free_sgpr 32
		.amdhsa_reserve_vcc 1
		.amdhsa_float_round_mode_32 0
		.amdhsa_float_round_mode_16_64 0
		.amdhsa_float_denorm_mode_32 3
		.amdhsa_float_denorm_mode_16_64 3
		.amdhsa_fp16_overflow 0
		.amdhsa_workgroup_processor_mode 1
		.amdhsa_memory_ordered 1
		.amdhsa_forward_progress 0
		.amdhsa_round_robin_scheduling 0
		.amdhsa_exception_fp_ieee_invalid_op 0
		.amdhsa_exception_fp_denorm_src 0
		.amdhsa_exception_fp_ieee_div_zero 0
		.amdhsa_exception_fp_ieee_overflow 0
		.amdhsa_exception_fp_ieee_underflow 0
		.amdhsa_exception_fp_ieee_inexact 0
		.amdhsa_exception_int_div_zero 0
	.end_amdhsa_kernel
	.text
.Lfunc_end0:
	.size	fft_rtc_fwd_len1176_factors_2_2_2_3_7_7_wgs_56_tpt_56_halfLds_dp_ip_CI_unitstride_sbrr_R2C_dirReg, .Lfunc_end0-fft_rtc_fwd_len1176_factors_2_2_2_3_7_7_wgs_56_tpt_56_halfLds_dp_ip_CI_unitstride_sbrr_R2C_dirReg
                                        ; -- End function
	.section	.AMDGPU.csdata,"",@progbits
; Kernel info:
; codeLenInByte = 16272
; NumSgprs: 34
; NumVgprs: 186
; ScratchSize: 0
; MemoryBound: 0
; FloatMode: 240
; IeeeMode: 1
; LDSByteSize: 0 bytes/workgroup (compile time only)
; SGPRBlocks: 4
; VGPRBlocks: 23
; NumSGPRsForWavesPerEU: 34
; NumVGPRsForWavesPerEU: 186
; Occupancy: 8
; WaveLimiterHint : 1
; COMPUTE_PGM_RSRC2:SCRATCH_EN: 0
; COMPUTE_PGM_RSRC2:USER_SGPR: 2
; COMPUTE_PGM_RSRC2:TRAP_HANDLER: 0
; COMPUTE_PGM_RSRC2:TGID_X_EN: 1
; COMPUTE_PGM_RSRC2:TGID_Y_EN: 0
; COMPUTE_PGM_RSRC2:TGID_Z_EN: 0
; COMPUTE_PGM_RSRC2:TIDIG_COMP_CNT: 0
	.text
	.p2alignl 7, 3214868480
	.fill 96, 4, 3214868480
	.type	__hip_cuid_110832f48913703f,@object ; @__hip_cuid_110832f48913703f
	.section	.bss,"aw",@nobits
	.globl	__hip_cuid_110832f48913703f
__hip_cuid_110832f48913703f:
	.byte	0                               ; 0x0
	.size	__hip_cuid_110832f48913703f, 1

	.ident	"AMD clang version 19.0.0git (https://github.com/RadeonOpenCompute/llvm-project roc-6.4.0 25133 c7fe45cf4b819c5991fe208aaa96edf142730f1d)"
	.section	".note.GNU-stack","",@progbits
	.addrsig
	.addrsig_sym __hip_cuid_110832f48913703f
	.amdgpu_metadata
---
amdhsa.kernels:
  - .args:
      - .actual_access:  read_only
        .address_space:  global
        .offset:         0
        .size:           8
        .value_kind:     global_buffer
      - .offset:         8
        .size:           8
        .value_kind:     by_value
      - .actual_access:  read_only
        .address_space:  global
        .offset:         16
        .size:           8
        .value_kind:     global_buffer
      - .actual_access:  read_only
        .address_space:  global
        .offset:         24
        .size:           8
        .value_kind:     global_buffer
      - .offset:         32
        .size:           8
        .value_kind:     by_value
      - .actual_access:  read_only
        .address_space:  global
        .offset:         40
        .size:           8
        .value_kind:     global_buffer
      - .actual_access:  read_only
        .address_space:  global
        .offset:         48
        .size:           8
        .value_kind:     global_buffer
      - .offset:         56
        .size:           4
        .value_kind:     by_value
      - .actual_access:  read_only
        .address_space:  global
        .offset:         64
        .size:           8
        .value_kind:     global_buffer
      - .actual_access:  read_only
        .address_space:  global
        .offset:         72
        .size:           8
        .value_kind:     global_buffer
      - .address_space:  global
        .offset:         80
        .size:           8
        .value_kind:     global_buffer
    .group_segment_fixed_size: 0
    .kernarg_segment_align: 8
    .kernarg_segment_size: 88
    .language:       OpenCL C
    .language_version:
      - 2
      - 0
    .max_flat_workgroup_size: 56
    .name:           fft_rtc_fwd_len1176_factors_2_2_2_3_7_7_wgs_56_tpt_56_halfLds_dp_ip_CI_unitstride_sbrr_R2C_dirReg
    .private_segment_fixed_size: 0
    .sgpr_count:     34
    .sgpr_spill_count: 0
    .symbol:         fft_rtc_fwd_len1176_factors_2_2_2_3_7_7_wgs_56_tpt_56_halfLds_dp_ip_CI_unitstride_sbrr_R2C_dirReg.kd
    .uniform_work_group_size: 1
    .uses_dynamic_stack: false
    .vgpr_count:     186
    .vgpr_spill_count: 0
    .wavefront_size: 32
    .workgroup_processor_mode: 1
amdhsa.target:   amdgcn-amd-amdhsa--gfx1201
amdhsa.version:
  - 1
  - 2
...

	.end_amdgpu_metadata
